;; amdgpu-corpus repo=ROCm/rocFFT kind=compiled arch=gfx1030 opt=O3
	.text
	.amdgcn_target "amdgcn-amd-amdhsa--gfx1030"
	.amdhsa_code_object_version 6
	.protected	fft_rtc_fwd_len1020_factors_2_17_2_3_5_wgs_204_tpt_68_halfLds_half_ip_CI_sbrr_dirReg ; -- Begin function fft_rtc_fwd_len1020_factors_2_17_2_3_5_wgs_204_tpt_68_halfLds_half_ip_CI_sbrr_dirReg
	.globl	fft_rtc_fwd_len1020_factors_2_17_2_3_5_wgs_204_tpt_68_halfLds_half_ip_CI_sbrr_dirReg
	.p2align	8
	.type	fft_rtc_fwd_len1020_factors_2_17_2_3_5_wgs_204_tpt_68_halfLds_half_ip_CI_sbrr_dirReg,@function
fft_rtc_fwd_len1020_factors_2_17_2_3_5_wgs_204_tpt_68_halfLds_half_ip_CI_sbrr_dirReg: ; @fft_rtc_fwd_len1020_factors_2_17_2_3_5_wgs_204_tpt_68_halfLds_half_ip_CI_sbrr_dirReg
; %bb.0:
	s_clause 0x1
	s_load_dwordx2 s[14:15], s[4:5], 0x18
	s_load_dwordx4 s[8:11], s[4:5], 0x0
	v_mul_u32_u24_e32 v1, 0x3c4, v0
	v_mov_b32_e32 v5, 0
	s_load_dwordx2 s[12:13], s[4:5], 0x50
	s_waitcnt lgkmcnt(0)
	s_load_dwordx2 s[2:3], s[14:15], 0x0
	v_lshrrev_b32_e32 v1, 16, v1
	v_cmp_lt_u64_e64 s0, s[10:11], 2
	v_mad_u64_u32 v[3:4], null, s6, 3, v[1:2]
	v_mov_b32_e32 v4, v5
	v_mov_b32_e32 v1, 0
	;; [unrolled: 1-line block ×3, first 2 shown]
	s_and_b32 vcc_lo, exec_lo, s0
	v_mov_b32_e32 v10, v4
	v_mov_b32_e32 v9, v3
	s_cbranch_vccnz .LBB0_8
; %bb.1:
	s_load_dwordx2 s[0:1], s[4:5], 0x10
	v_mov_b32_e32 v1, 0
	v_mov_b32_e32 v8, v4
	s_add_u32 s6, s14, 8
	v_mov_b32_e32 v2, 0
	v_mov_b32_e32 v7, v3
	s_addc_u32 s7, s15, 0
	s_mov_b64 s[18:19], 1
	s_waitcnt lgkmcnt(0)
	s_add_u32 s16, s0, 8
	s_addc_u32 s17, s1, 0
.LBB0_2:                                ; =>This Inner Loop Header: Depth=1
	s_load_dwordx2 s[20:21], s[16:17], 0x0
                                        ; implicit-def: $vgpr9_vgpr10
	s_mov_b32 s0, exec_lo
	s_waitcnt lgkmcnt(0)
	v_or_b32_e32 v6, s21, v8
	v_cmpx_ne_u64_e32 0, v[5:6]
	s_xor_b32 s1, exec_lo, s0
	s_cbranch_execz .LBB0_4
; %bb.3:                                ;   in Loop: Header=BB0_2 Depth=1
	v_cvt_f32_u32_e32 v4, s20
	v_cvt_f32_u32_e32 v6, s21
	s_sub_u32 s0, 0, s20
	s_subb_u32 s22, 0, s21
	v_fmac_f32_e32 v4, 0x4f800000, v6
	v_rcp_f32_e32 v4, v4
	v_mul_f32_e32 v4, 0x5f7ffffc, v4
	v_mul_f32_e32 v6, 0x2f800000, v4
	v_trunc_f32_e32 v6, v6
	v_fmac_f32_e32 v4, 0xcf800000, v6
	v_cvt_u32_f32_e32 v6, v6
	v_cvt_u32_f32_e32 v4, v4
	v_mul_lo_u32 v9, s0, v6
	v_mul_hi_u32 v10, s0, v4
	v_mul_lo_u32 v11, s22, v4
	v_add_nc_u32_e32 v9, v10, v9
	v_mul_lo_u32 v10, s0, v4
	v_add_nc_u32_e32 v9, v9, v11
	v_mul_hi_u32 v11, v4, v10
	v_mul_lo_u32 v12, v4, v9
	v_mul_hi_u32 v13, v4, v9
	v_mul_hi_u32 v14, v6, v10
	v_mul_lo_u32 v10, v6, v10
	v_mul_hi_u32 v15, v6, v9
	v_mul_lo_u32 v9, v6, v9
	v_add_co_u32 v11, vcc_lo, v11, v12
	v_add_co_ci_u32_e32 v12, vcc_lo, 0, v13, vcc_lo
	v_add_co_u32 v10, vcc_lo, v11, v10
	v_add_co_ci_u32_e32 v10, vcc_lo, v12, v14, vcc_lo
	v_add_co_ci_u32_e32 v11, vcc_lo, 0, v15, vcc_lo
	v_add_co_u32 v9, vcc_lo, v10, v9
	v_add_co_ci_u32_e32 v10, vcc_lo, 0, v11, vcc_lo
	v_add_co_u32 v4, vcc_lo, v4, v9
	v_add_co_ci_u32_e32 v6, vcc_lo, v6, v10, vcc_lo
	v_mul_hi_u32 v9, s0, v4
	v_mul_lo_u32 v11, s22, v4
	v_mul_lo_u32 v10, s0, v6
	v_add_nc_u32_e32 v9, v9, v10
	v_mul_lo_u32 v10, s0, v4
	v_add_nc_u32_e32 v9, v9, v11
	v_mul_hi_u32 v11, v4, v10
	v_mul_lo_u32 v12, v4, v9
	v_mul_hi_u32 v13, v4, v9
	v_mul_hi_u32 v14, v6, v10
	v_mul_lo_u32 v10, v6, v10
	v_mul_hi_u32 v15, v6, v9
	v_mul_lo_u32 v9, v6, v9
	v_add_co_u32 v11, vcc_lo, v11, v12
	v_add_co_ci_u32_e32 v12, vcc_lo, 0, v13, vcc_lo
	v_add_co_u32 v10, vcc_lo, v11, v10
	v_add_co_ci_u32_e32 v10, vcc_lo, v12, v14, vcc_lo
	v_add_co_ci_u32_e32 v11, vcc_lo, 0, v15, vcc_lo
	v_add_co_u32 v9, vcc_lo, v10, v9
	v_add_co_ci_u32_e32 v10, vcc_lo, 0, v11, vcc_lo
	v_add_co_u32 v4, vcc_lo, v4, v9
	v_add_co_ci_u32_e32 v6, vcc_lo, v6, v10, vcc_lo
	v_mul_hi_u32 v15, v7, v4
	v_mad_u64_u32 v[11:12], null, v8, v4, 0
	v_mad_u64_u32 v[9:10], null, v7, v6, 0
	v_mad_u64_u32 v[13:14], null, v8, v6, 0
	v_add_co_u32 v4, vcc_lo, v15, v9
	v_add_co_ci_u32_e32 v6, vcc_lo, 0, v10, vcc_lo
	v_add_co_u32 v4, vcc_lo, v4, v11
	v_add_co_ci_u32_e32 v4, vcc_lo, v6, v12, vcc_lo
	v_add_co_ci_u32_e32 v6, vcc_lo, 0, v14, vcc_lo
	v_add_co_u32 v4, vcc_lo, v4, v13
	v_add_co_ci_u32_e32 v6, vcc_lo, 0, v6, vcc_lo
	v_mul_lo_u32 v11, s21, v4
	v_mad_u64_u32 v[9:10], null, s20, v4, 0
	v_mul_lo_u32 v12, s20, v6
	v_sub_co_u32 v9, vcc_lo, v7, v9
	v_add3_u32 v10, v10, v12, v11
	v_sub_nc_u32_e32 v11, v8, v10
	v_subrev_co_ci_u32_e64 v11, s0, s21, v11, vcc_lo
	v_add_co_u32 v12, s0, v4, 2
	v_add_co_ci_u32_e64 v13, s0, 0, v6, s0
	v_sub_co_u32 v14, s0, v9, s20
	v_sub_co_ci_u32_e32 v10, vcc_lo, v8, v10, vcc_lo
	v_subrev_co_ci_u32_e64 v11, s0, 0, v11, s0
	v_cmp_le_u32_e32 vcc_lo, s20, v14
	v_cmp_eq_u32_e64 s0, s21, v10
	v_cndmask_b32_e64 v14, 0, -1, vcc_lo
	v_cmp_le_u32_e32 vcc_lo, s21, v11
	v_cndmask_b32_e64 v15, 0, -1, vcc_lo
	v_cmp_le_u32_e32 vcc_lo, s20, v9
	;; [unrolled: 2-line block ×3, first 2 shown]
	v_cndmask_b32_e64 v16, 0, -1, vcc_lo
	v_cmp_eq_u32_e32 vcc_lo, s21, v11
	v_cndmask_b32_e64 v9, v16, v9, s0
	v_cndmask_b32_e32 v11, v15, v14, vcc_lo
	v_add_co_u32 v14, vcc_lo, v4, 1
	v_add_co_ci_u32_e32 v15, vcc_lo, 0, v6, vcc_lo
	v_cmp_ne_u32_e32 vcc_lo, 0, v11
	v_cndmask_b32_e32 v10, v15, v13, vcc_lo
	v_cndmask_b32_e32 v11, v14, v12, vcc_lo
	v_cmp_ne_u32_e32 vcc_lo, 0, v9
	v_cndmask_b32_e32 v10, v6, v10, vcc_lo
	v_cndmask_b32_e32 v9, v4, v11, vcc_lo
.LBB0_4:                                ;   in Loop: Header=BB0_2 Depth=1
	s_andn2_saveexec_b32 s0, s1
	s_cbranch_execz .LBB0_6
; %bb.5:                                ;   in Loop: Header=BB0_2 Depth=1
	v_cvt_f32_u32_e32 v4, s20
	s_sub_i32 s1, 0, s20
	v_rcp_iflag_f32_e32 v4, v4
	v_mul_f32_e32 v4, 0x4f7ffffe, v4
	v_cvt_u32_f32_e32 v4, v4
	v_mul_lo_u32 v6, s1, v4
	v_mul_hi_u32 v6, v4, v6
	v_add_nc_u32_e32 v4, v4, v6
	v_mul_hi_u32 v4, v7, v4
	v_mul_lo_u32 v6, v4, s20
	v_add_nc_u32_e32 v9, 1, v4
	v_sub_nc_u32_e32 v6, v7, v6
	v_subrev_nc_u32_e32 v10, s20, v6
	v_cmp_le_u32_e32 vcc_lo, s20, v6
	v_cndmask_b32_e32 v6, v6, v10, vcc_lo
	v_cndmask_b32_e32 v4, v4, v9, vcc_lo
	v_mov_b32_e32 v10, v5
	v_cmp_le_u32_e32 vcc_lo, s20, v6
	v_add_nc_u32_e32 v9, 1, v4
	v_cndmask_b32_e32 v9, v4, v9, vcc_lo
.LBB0_6:                                ;   in Loop: Header=BB0_2 Depth=1
	s_or_b32 exec_lo, exec_lo, s0
	s_load_dwordx2 s[0:1], s[6:7], 0x0
	v_mul_lo_u32 v4, v10, s20
	v_mul_lo_u32 v6, v9, s21
	v_mad_u64_u32 v[11:12], null, v9, s20, 0
	s_add_u32 s18, s18, 1
	s_addc_u32 s19, s19, 0
	s_add_u32 s6, s6, 8
	s_addc_u32 s7, s7, 0
	s_add_u32 s16, s16, 8
	s_addc_u32 s17, s17, 0
	v_add3_u32 v4, v12, v6, v4
	v_sub_co_u32 v6, vcc_lo, v7, v11
	v_sub_co_ci_u32_e32 v4, vcc_lo, v8, v4, vcc_lo
	s_waitcnt lgkmcnt(0)
	v_mul_lo_u32 v7, s1, v6
	v_mul_lo_u32 v4, s0, v4
	v_mad_u64_u32 v[1:2], null, s0, v6, v[1:2]
	v_cmp_ge_u64_e64 s0, s[18:19], s[10:11]
	s_and_b32 vcc_lo, exec_lo, s0
	v_add3_u32 v2, v7, v2, v4
	s_cbranch_vccnz .LBB0_8
; %bb.7:                                ;   in Loop: Header=BB0_2 Depth=1
	v_mov_b32_e32 v7, v9
	v_mov_b32_e32 v8, v10
	s_branch .LBB0_2
.LBB0_8:
	s_lshl_b64 s[0:1], s[10:11], 3
	v_mul_hi_u32 v4, 0x3c3c3c4, v0
	s_add_u32 s0, s14, s0
	s_addc_u32 s1, s15, s1
	s_load_dwordx2 s[4:5], s[4:5], 0x20
	s_load_dwordx2 s[0:1], s[0:1], 0x0
                                        ; implicit-def: $vgpr17
                                        ; implicit-def: $vgpr14
                                        ; implicit-def: $vgpr16
	v_mul_u32_u24_e32 v4, 0x44, v4
	v_sub_nc_u32_e32 v12, v0, v4
	v_add_nc_u32_e32 v11, 0x44, v12
	v_add_nc_u32_e32 v8, 0x88, v12
	;; [unrolled: 1-line block ×5, first 2 shown]
	s_waitcnt lgkmcnt(0)
	v_cmp_gt_u64_e32 vcc_lo, s[4:5], v[9:10]
	v_mul_lo_u32 v5, s0, v10
	v_mul_lo_u32 v6, s1, v9
	v_mad_u64_u32 v[0:1], null, s0, v9, v[1:2]
	v_cmp_le_u64_e64 s0, s[4:5], v[9:10]
	v_add_nc_u32_e32 v9, 0x198, v12
                                        ; implicit-def: $sgpr4
                                        ; implicit-def: $vgpr10
	v_add3_u32 v1, v6, v1, v5
	s_and_saveexec_b32 s1, s0
	s_xor_b32 s0, exec_lo, s1
; %bb.9:
	v_add_nc_u32_e32 v17, 0x44, v12
	v_add_nc_u32_e32 v14, 0x88, v12
	;; [unrolled: 1-line block ×6, first 2 shown]
	s_mov_b32 s4, 0
; %bb.10:
	s_or_saveexec_b32 s1, s0
	v_lshlrev_b64 v[0:1], 2, v[0:1]
	v_mov_b32_e32 v29, s4
	v_mov_b32_e32 v52, s4
                                        ; implicit-def: $vgpr28
                                        ; implicit-def: $vgpr15
                                        ; implicit-def: $vgpr39
                                        ; implicit-def: $vgpr2
                                        ; implicit-def: $vgpr37
                                        ; implicit-def: $vgpr18
                                        ; implicit-def: $vgpr43
                                        ; implicit-def: $vgpr5
                                        ; implicit-def: $vgpr42
                                        ; implicit-def: $vgpr30
                                        ; implicit-def: $vgpr45
                                        ; implicit-def: $vgpr6
                                        ; implicit-def: $vgpr40
                                        ; implicit-def: $vgpr31
                                        ; implicit-def: $vgpr46
                                        ; implicit-def: $vgpr19
                                        ; implicit-def: $vgpr44
                                        ; implicit-def: $vgpr32
                                        ; implicit-def: $vgpr48
                                        ; implicit-def: $vgpr20
                                        ; implicit-def: $vgpr47
                                        ; implicit-def: $vgpr33
                                        ; implicit-def: $vgpr50
                                        ; implicit-def: $vgpr21
                                        ; implicit-def: $vgpr49
                                        ; implicit-def: $vgpr41
                                        ; implicit-def: $vgpr51
                                        ; implicit-def: $vgpr34
                                        ; implicit-def: $vgpr36
                                        ; implicit-def: $vgpr35
	s_xor_b32 exec_lo, exec_lo, s1
	s_cbranch_execz .LBB0_14
; %bb.11:
	v_mad_u64_u32 v[5:6], null, s2, v12, 0
	v_add_nc_u32_e32 v10, 0x1fe, v12
	v_mad_u64_u32 v[17:18], null, s2, v11, 0
	v_add_nc_u32_e32 v23, 0x242, v12
	v_add_nc_u32_e32 v30, 0x286, v12
	v_mad_u64_u32 v[15:16], null, s2, v10, 0
	v_mov_b32_e32 v2, v6
	v_mad_u64_u32 v[34:35], null, s2, v7, 0
	v_mad_u64_u32 v[40:41], null, s2, v4, 0
	;; [unrolled: 1-line block ×3, first 2 shown]
	v_mov_b32_e32 v2, v16
	v_add_nc_u32_e32 v44, 0x352, v12
	v_mov_b32_e32 v52, 0
	s_mov_b32 s4, exec_lo
	v_mad_u64_u32 v[20:21], null, s3, v10, v[2:3]
	v_mov_b32_e32 v2, v18
	v_mov_b32_e32 v6, v19
	v_mad_u64_u32 v[21:22], null, s2, v23, 0
	v_add_co_u32 v10, s0, s12, v0
	v_mov_b32_e32 v16, v20
	v_mad_u64_u32 v[18:19], null, s3, v11, v[2:3]
	v_lshlrev_b64 v[5:6], 2, v[5:6]
	v_mad_u64_u32 v[19:20], null, s2, v8, 0
	v_add_co_ci_u32_e64 v14, s0, s13, v1, s0
	v_mov_b32_e32 v2, v22
	v_lshlrev_b64 v[15:16], 2, v[15:16]
	v_add_co_u32 v5, s0, v10, v5
	v_add_co_ci_u32_e64 v6, s0, v14, v6, s0
	v_mad_u64_u32 v[22:23], null, s3, v23, v[2:3]
	v_add_co_u32 v23, s0, v10, v15
	v_mov_b32_e32 v2, v20
	v_add_co_ci_u32_e64 v24, s0, v14, v16, s0
	v_lshlrev_b64 v[15:16], 2, v[17:18]
	v_mad_u64_u32 v[17:18], null, s2, v30, 0
	v_mad_u64_u32 v[25:26], null, s3, v8, v[2:3]
	;; [unrolled: 1-line block ×3, first 2 shown]
	v_add_co_u32 v28, s0, v10, v15
	v_mov_b32_e32 v2, v18
	v_add_co_ci_u32_e64 v29, s0, v14, v16, s0
	v_lshlrev_b64 v[15:16], 2, v[21:22]
	v_mov_b32_e32 v20, v25
	v_add_nc_u32_e32 v25, 0x2ca, v12
	v_mad_u64_u32 v[21:22], null, s3, v30, v[2:3]
	v_mov_b32_e32 v2, v27
	v_add_co_u32 v32, s0, v10, v15
	v_mad_u64_u32 v[30:31], null, s2, v25, 0
	v_add_co_ci_u32_e64 v33, s0, v14, v16, s0
	v_lshlrev_b64 v[15:16], 2, v[19:20]
	v_mad_u64_u32 v[19:20], null, s3, v13, v[2:3]
	v_mov_b32_e32 v18, v21
	v_mov_b32_e32 v2, v31
	v_mad_u64_u32 v[42:43], null, s2, v44, 0
	v_add_co_u32 v20, s0, v10, v15
	v_add_co_ci_u32_e64 v21, s0, v14, v16, s0
	v_lshlrev_b64 v[15:16], 2, v[17:18]
	v_mov_b32_e32 v27, v19
	v_mad_u64_u32 v[17:18], null, s3, v25, v[2:3]
	v_add_nc_u32_e32 v19, 0x30e, v12
	v_mov_b32_e32 v2, v35
	v_add_co_u32 v36, s0, v10, v15
	v_add_co_ci_u32_e64 v37, s0, v14, v16, s0
	v_lshlrev_b64 v[15:16], 2, v[26:27]
	v_mov_b32_e32 v31, v17
	v_mad_u64_u32 v[25:26], null, s2, v19, 0
	v_mad_u64_u32 v[17:18], null, s3, v7, v[2:3]
	v_add_co_u32 v38, s0, v10, v15
	v_add_co_ci_u32_e64 v39, s0, v14, v16, s0
	v_lshlrev_b64 v[15:16], 2, v[30:31]
	v_mov_b32_e32 v2, v26
	v_mov_b32_e32 v35, v17
	v_add_co_u32 v26, s0, v10, v15
	v_add_co_ci_u32_e64 v27, s0, v14, v16, s0
	v_mad_u64_u32 v[16:17], null, s3, v19, v[2:3]
	s_clause 0x7
	global_load_dword v15, v[5:6], off
	global_load_dword v2, v[23:24], off
	;; [unrolled: 1-line block ×8, first 2 shown]
	v_mov_b32_e32 v17, v41
	v_mad_u64_u32 v[22:23], null, s2, v9, 0
	v_lshlrev_b64 v[20:21], 2, v[34:35]
	v_add_nc_u32_e32 v34, 0x396, v12
	v_mov_b32_e32 v26, v16
	v_add_co_u32 v20, s0, v10, v20
	v_add_co_ci_u32_e64 v21, s0, v14, v21, s0
	s_waitcnt vmcnt(5)
	v_mad_u64_u32 v[16:17], null, s3, v4, v[17:18]
	v_mov_b32_e32 v17, v43
	v_mad_u64_u32 v[27:28], null, s3, v44, v[17:18]
	v_mad_u64_u32 v[28:29], null, s2, v34, 0
	v_mov_b32_e32 v17, v23
	v_mov_b32_e32 v41, v16
	v_lshlrev_b64 v[23:24], 2, v[25:26]
	v_mov_b32_e32 v43, v27
	v_mad_u64_u32 v[16:17], null, s3, v9, v[17:18]
	v_mov_b32_e32 v17, v29
	v_lshlrev_b64 v[32:33], 2, v[40:41]
	v_add_co_u32 v25, s0, v10, v23
	v_add_co_ci_u32_e64 v26, s0, v14, v24, s0
	v_mad_u64_u32 v[34:35], null, s3, v34, v[17:18]
	v_mov_b32_e32 v23, v16
	v_lshlrev_b64 v[35:36], 2, v[42:43]
	v_add_co_u32 v16, s0, v10, v32
	v_add_co_ci_u32_e64 v17, s0, v14, v33, s0
	v_mov_b32_e32 v29, v34
	v_lshlrev_b64 v[22:23], 2, v[22:23]
	v_add_co_u32 v34, s0, v10, v35
	v_add_co_ci_u32_e64 v35, s0, v14, v36, s0
	v_lshlrev_b64 v[27:28], 2, v[28:29]
	v_add_co_u32 v22, s0, v10, v22
	v_add_co_ci_u32_e64 v23, s0, v14, v23, s0
	v_mov_b32_e32 v29, 0
	v_add_co_u32 v27, s0, v10, v27
	v_add_co_ci_u32_e64 v28, s0, v14, v28, s0
	s_clause 0x5
	global_load_dword v32, v[20:21], off
	global_load_dword v20, v[25:26], off
	;; [unrolled: 1-line block ×6, first 2 shown]
                                        ; implicit-def: $vgpr35
                                        ; implicit-def: $vgpr36
	v_cmpx_gt_u32_e32 34, v12
	s_cbranch_execz .LBB0_13
; %bb.12:
	v_add_nc_u32_e32 v24, 0x1dc, v12
	v_add_nc_u32_e32 v26, 0x3da, v12
	v_mad_u64_u32 v[16:17], null, s2, v24, 0
	v_mad_u64_u32 v[22:23], null, s2, v26, 0
	;; [unrolled: 1-line block ×4, first 2 shown]
	v_mov_b32_e32 v17, v24
	v_lshlrev_b64 v[16:17], 2, v[16:17]
	v_mov_b32_e32 v23, v25
	v_add_co_u32 v16, s0, v10, v16
	v_lshlrev_b64 v[22:23], 2, v[22:23]
	v_add_co_ci_u32_e64 v17, s0, v14, v17, s0
	v_add_co_u32 v22, s0, v10, v22
	v_add_co_ci_u32_e64 v23, s0, v14, v23, s0
	s_clause 0x1
	global_load_dword v52, v[16:17], off
	global_load_dword v35, v[22:23], off
	s_waitcnt vmcnt(1)
	v_lshrrev_b32_e32 v29, 16, v52
	s_waitcnt vmcnt(0)
	v_lshrrev_b32_e32 v36, 16, v35
.LBB0_13:
	s_or_b32 exec_lo, exec_lo, s4
	v_lshrrev_b32_e32 v28, 16, v15
	v_lshrrev_b32_e32 v39, 16, v2
	;; [unrolled: 1-line block ×3, first 2 shown]
	s_waitcnt vmcnt(10)
	v_lshrrev_b32_e32 v43, 16, v5
	s_waitcnt vmcnt(9)
	v_lshrrev_b32_e32 v42, 16, v30
	;; [unrolled: 2-line block ×11, first 2 shown]
	v_mov_b32_e32 v16, v9
	v_mov_b32_e32 v10, v13
	;; [unrolled: 1-line block ×4, first 2 shown]
.LBB0_14:
	s_or_b32 exec_lo, exec_lo, s1
	v_mul_hi_u32 v27, 0xaaaaaaab, v3
	v_sub_f16_e32 v23, v18, v5
	v_sub_f16_e32 v25, v31, v19
	;; [unrolled: 1-line block ×4, first 2 shown]
	v_lshlrev_b32_e32 v2, 2, v12
	v_fma_f16 v38, v18, 2.0, -v23
	v_sub_f16_e32 v26, v32, v20
	v_lshrrev_b32_e32 v5, 1, v27
	v_sub_f16_e32 v27, v33, v21
	v_sub_f16_e32 v21, v41, v34
	v_lshlrev_b32_e32 v6, 2, v14
	v_fma_f16 v34, v30, 2.0, -v24
	v_lshl_add_u32 v19, v5, 1, v5
	v_lshlrev_b32_e32 v5, 2, v17
	v_pack_b32_f16 v18, v38, v23
	v_sub_f16_e32 v20, v52, v35
	v_fma_f16 v35, v31, 2.0, -v25
	v_sub_nc_u32_e32 v3, v3, v19
	v_fma_f16 v19, v15, 2.0, -v22
	v_fma_f16 v31, v32, 2.0, -v26
	;; [unrolled: 1-line block ×3, first 2 shown]
	v_pack_b32_f16 v41, v34, v24
	v_mul_u32_u24_e32 v3, 0x3fc, v3
	v_lshlrev_b32_e32 v53, 2, v10
	v_lshlrev_b32_e32 v54, 2, v7
	v_lshlrev_b32_e32 v55, 2, v4
	v_fma_f16 v33, v33, 2.0, -v27
	v_lshlrev_b32_e32 v15, 1, v3
	v_pack_b32_f16 v3, v19, v22
	v_fma_f16 v30, v52, 2.0, -v20
	v_pack_b32_f16 v52, v35, v25
	v_cmp_gt_u32_e64 s0, 34, v12
	v_add3_u32 v61, 0, v2, v15
	v_add3_u32 v64, 0, v5, v15
	;; [unrolled: 1-line block ×5, first 2 shown]
	ds_write_b32 v61, v3
	ds_write_b32 v64, v18
	;; [unrolled: 1-line block ×3, first 2 shown]
	v_lshlrev_b32_e32 v3, 2, v16
	v_add_nc_u32_e32 v18, 0x1dc, v12
	v_add3_u32 v66, 0, v55, v15
	v_pack_b32_f16 v41, v31, v26
	v_pack_b32_f16 v53, v33, v27
	v_add3_u32 v69, 0, v3, v15
	v_lshlrev_b32_e32 v67, 2, v18
	v_pack_b32_f16 v3, v32, v21
	ds_write_b32 v59, v52
	ds_write_b32 v60, v41
	;; [unrolled: 1-line block ×4, first 2 shown]
	s_and_saveexec_b32 s1, s0
	s_cbranch_execz .LBB0_16
; %bb.15:
	v_add3_u32 v3, 0, v67, v15
	v_perm_b32 v41, v20, v30, 0x5040100
	ds_write_b32 v3, v41
.LBB0_16:
	s_or_b32 exec_lo, exec_lo, s1
	v_cmp_gt_u32_e64 s1, 60, v12
	v_lshlrev_b32_e32 v3, 1, v12
	s_waitcnt lgkmcnt(0)
	s_barrier
	buffer_gl0_inv
                                        ; implicit-def: $vgpr41
	s_and_saveexec_b32 s4, s1
	s_cbranch_execz .LBB0_18
; %bb.17:
	v_add3_u32 v19, 0, v15, v3
	v_add3_u32 v41, 0, v3, v15
	ds_read_u16 v19, v19
	ds_read_u16 v22, v41 offset:120
	ds_read_u16 v38, v41 offset:240
	;; [unrolled: 1-line block ×16, first 2 shown]
.LBB0_18:
	s_or_b32 exec_lo, exec_lo, s4
	v_sub_f16_e32 v54, v28, v39
	v_sub_f16_e32 v53, v37, v43
	;; [unrolled: 1-line block ×5, first 2 shown]
	v_fma_f16 v28, v28, 2.0, -v54
	v_fma_f16 v63, v37, 2.0, -v53
	v_sub_f16_e32 v55, v40, v46
	v_sub_f16_e32 v56, v44, v48
	;; [unrolled: 1-line block ×3, first 2 shown]
	v_fma_f16 v62, v42, 2.0, -v52
	v_fma_f16 v75, v29, 2.0, -v51
	v_pack_b32_f16 v29, v28, v54
	v_fma_f16 v70, v40, 2.0, -v55
	v_pack_b32_f16 v36, v63, v53
	v_fma_f16 v65, v44, 2.0, -v56
	v_fma_f16 v68, v47, 2.0, -v58
	;; [unrolled: 1-line block ×3, first 2 shown]
	s_waitcnt lgkmcnt(0)
	s_barrier
	buffer_gl0_inv
	ds_write_b32 v61, v29
	ds_write_b32 v64, v36
	v_pack_b32_f16 v29, v62, v52
	v_pack_b32_f16 v36, v70, v55
	;; [unrolled: 1-line block ×5, first 2 shown]
	ds_write_b32 v57, v29
	ds_write_b32 v59, v36
	;; [unrolled: 1-line block ×5, first 2 shown]
	s_and_saveexec_b32 s4, s0
	s_cbranch_execz .LBB0_20
; %bb.19:
	v_add3_u32 v29, 0, v67, v15
	v_perm_b32 v36, v51, v75, 0x5040100
	ds_write_b32 v29, v36
.LBB0_20:
	s_or_b32 exec_lo, exec_lo, s4
	s_waitcnt lgkmcnt(0)
	s_barrier
	buffer_gl0_inv
                                        ; implicit-def: $vgpr74
	s_and_saveexec_b32 s4, s1
	s_cbranch_execz .LBB0_22
; %bb.21:
	v_add3_u32 v28, 0, v15, v3
	v_add3_u32 v29, 0, v3, v15
	ds_read_u16 v28, v28
	ds_read_u16 v54, v29 offset:120
	ds_read_u16 v63, v29 offset:240
	;; [unrolled: 1-line block ×16, first 2 shown]
.LBB0_22:
	s_or_b32 exec_lo, exec_lo, s4
	v_and_b32_e32 v29, 1, v12
	v_lshlrev_b32_e32 v36, 6, v29
	s_clause 0x3
	global_load_dwordx4 v[76:79], v36, s[8:9]
	global_load_dwordx4 v[80:83], v36, s[8:9] offset:16
	global_load_dwordx4 v[84:87], v36, s[8:9] offset:32
	;; [unrolled: 1-line block ×3, first 2 shown]
	s_waitcnt vmcnt(0) lgkmcnt(0)
	s_barrier
	buffer_gl0_inv
	v_mul_f16_sdwa v61, v22, v76 dst_sel:DWORD dst_unused:UNUSED_PAD src0_sel:DWORD src1_sel:WORD_1
	v_mul_f16_sdwa v64, v54, v76 dst_sel:DWORD dst_unused:UNUSED_PAD src0_sel:DWORD src1_sel:WORD_1
	;; [unrolled: 1-line block ×7, first 2 shown]
	v_fmac_f16_e32 v61, v54, v76
	v_fmac_f16_e32 v44, v74, v91
	v_mul_f16_sdwa v66, v63, v77 dst_sel:DWORD dst_unused:UNUSED_PAD src0_sel:DWORD src1_sel:WORD_1
	v_mul_f16_sdwa v59, v23, v78 dst_sel:DWORD dst_unused:UNUSED_PAD src0_sel:DWORD src1_sel:WORD_1
	;; [unrolled: 1-line block ×7, first 2 shown]
	v_fma_f16 v72, v22, v76, -v64
	v_fmac_f16_e32 v60, v63, v77
	v_fmac_f16_e32 v50, v52, v80
	v_fma_f16 v74, v41, v91, -v104
	v_fmac_f16_e32 v43, v51, v90
	v_sub_f16_e32 v52, v61, v44
	v_mul_f16_sdwa v67, v53, v78 dst_sel:DWORD dst_unused:UNUSED_PAD src0_sel:DWORD src1_sel:WORD_1
	v_mul_f16_sdwa v57, v34, v79 dst_sel:DWORD dst_unused:UNUSED_PAD src0_sel:DWORD src1_sel:WORD_1
	;; [unrolled: 1-line block ×8, first 2 shown]
	v_fma_f16 v71, v38, v77, -v66
	v_fmac_f16_e32 v59, v53, v78
	v_fmac_f16_e32 v36, v73, v87
	v_fma_f16 v73, v21, v88, -v101
	v_fmac_f16_e32 v40, v75, v89
	v_fma_f16 v75, v20, v90, -v103
	v_add_f16_e32 v20, v72, v74
	v_sub_f16_e32 v21, v60, v43
	v_pk_mul_f16 v54, 0xb964bb29, v52 op_sel_hi:[1,0]
	v_mul_f16_sdwa v92, v62, v79 dst_sel:DWORD dst_unused:UNUSED_PAD src0_sel:DWORD src1_sel:WORD_1
	v_mul_f16_sdwa v95, v55, v82 dst_sel:DWORD dst_unused:UNUSED_PAD src0_sel:DWORD src1_sel:WORD_1
	;; [unrolled: 1-line block ×5, first 2 shown]
	v_fma_f16 v69, v23, v78, -v67
	v_fmac_f16_e32 v57, v62, v79
	v_fma_f16 v66, v24, v80, -v93
	v_fmac_f16_e32 v48, v55, v82
	v_fmac_f16_e32 v47, v65, v83
	v_fma_f16 v65, v33, v85, -v98
	v_fmac_f16_e32 v37, v45, v88
	v_fma_f16 v76, v30, v89, -v102
	v_add_f16_e32 v24, v71, v75
	v_sub_f16_e32 v33, v59, v40
	v_pk_mul_f16 v55, 0xbbf7ba62, v21 op_sel_hi:[1,0]
	v_pk_fma_f16 v22, 0x39e93722, v20, v54 op_sel_hi:[1,0,1]
	v_mul_f16_sdwa v94, v70, v81 dst_sel:DWORD dst_unused:UNUSED_PAD src0_sel:DWORD src1_sel:WORD_1
	v_mul_f16_sdwa v49, v35, v81 dst_sel:DWORD dst_unused:UNUSED_PAD src0_sel:DWORD src1_sel:WORD_1
	;; [unrolled: 1-line block ×5, first 2 shown]
	v_fma_f16 v67, v34, v79, -v92
	v_fma_f16 v63, v25, v82, -v95
	v_fmac_f16_e32 v46, v56, v84
	v_add_f16_e32 v25, v69, v76
	v_sub_f16_e32 v34, v57, v37
	v_pk_mul_f16 v56, 0xba6231e1, v33 op_sel_hi:[1,0]
	v_pk_fma_f16 v23, 0x2de8b8d2, v24, v55 op_sel_hi:[1,0,1]
	v_pk_add_f16 v22, v19, v22 op_sel_hi:[0,1]
	v_fma_f16 v64, v35, v81, -v94
	v_fmac_f16_e32 v49, v70, v81
	v_fma_f16 v62, v26, v84, -v97
	v_fmac_f16_e32 v42, v68, v85
	;; [unrolled: 2-line block ×3, first 2 shown]
	v_fma_f16 v70, v32, v87, -v100
	v_add_f16_e32 v26, v67, v73
	v_sub_f16_e32 v35, v50, v36
	v_pk_mul_f16 v58, 0xb1e13bb2, v34 op_sel_hi:[1,0]
	v_pk_fma_f16 v27, 0xb8d2bbdd, v25, v56 op_sel_hi:[1,0,1]
	v_pk_add_f16 v22, v23, v22
	v_add_f16_e32 v32, v66, v70
	v_sub_f16_e32 v41, v49, v39
	v_pk_mul_f16 v77, 0x38363964, v35 op_sel_hi:[1,0]
	v_pk_fma_f16 v23, 0xbbddb461, v26, v58 op_sel_hi:[1,0,1]
	v_pk_add_f16 v27, v27, v22
	;; [unrolled: 5-line block ×3, first 2 shown]
	v_fma_f16 v31, v31, v83, -v96
	v_add_f16_e32 v23, v63, v65
	v_sub_f16_e32 v51, v47, v46
	v_pk_mul_f16 v79, 0x3b29bbf7, v45 op_sel_hi:[1,0]
	v_pk_fma_f16 v80, 0xb4613b76, v22, v78 op_sel_hi:[1,0,1]
	v_pk_add_f16 v27, v30, v27
	v_add_f16_e32 v38, v31, v62
	v_pk_mul_f16 v53, 0x35c8b836, v51 op_sel_hi:[1,0]
	v_pk_fma_f16 v30, 0x37222de8, v23, v79 op_sel_hi:[1,0,1]
	v_pk_add_f16 v27, v80, v27
	v_pk_fma_f16 v80, 0x3b76bacd, v38, v53 op_sel_hi:[1,0,1]
	v_pk_add_f16 v27, v30, v27
	v_lshrrev_b32_e32 v30, 1, v12
	v_pk_add_f16 v27, v80, v27
	s_and_saveexec_b32 s4, s1
	s_cbranch_execz .LBB0_24
; %bb.23:
	v_mul_f16_e32 v89, 0xb1e1, v52
	v_mul_f16_e32 v90, 0x35c8, v21
	;; [unrolled: 1-line block ×5, first 2 shown]
	v_fmamk_f16 v103, v20, 0xbbdd, v89
	v_fmamk_f16 v104, v24, 0x3b76, v90
	v_fma_f16 v89, v20, 0xbbdd, -v89
	v_fmamk_f16 v105, v25, 0xbacd, v91
	v_fma_f16 v90, v24, 0x3b76, -v90
	v_add_f16_e32 v103, v19, v103
	v_mul_f16_e32 v93, 0xba62, v35
	v_add_f16_e32 v89, v19, v89
	v_mul_f16_e32 v98, 0x3b29, v21
	v_fmamk_f16 v106, v26, 0x39e9, v92
	v_add_f16_e32 v103, v104, v103
	v_mul_f16_e32 v99, 0xbbf7, v33
	v_add_f16_e32 v89, v90, v89
	v_fmamk_f16 v90, v20, 0xbacd, v97
	v_fmamk_f16 v107, v32, 0xb8d2, v93
	v_add_f16_e32 v103, v105, v103
	v_fma_f16 v91, v25, 0xbacd, -v91
	v_fmamk_f16 v104, v24, 0x3722, v98
	v_add_f16_e32 v90, v19, v90
	v_mul_f16_e32 v100, 0x3a62, v34
	v_add_f16_e32 v103, v106, v103
	v_fma_f16 v92, v26, 0x39e9, -v92
	v_add_f16_e32 v89, v91, v89
	v_add_f16_e32 v90, v104, v90
	v_mul_f16_e32 v94, 0x3b29, v41
	v_add_f16_e32 v91, v107, v103
	v_fmamk_f16 v103, v25, 0x2de8, v99
	v_mul_f16_e32 v101, 0xb5c8, v35
	v_fma_f16 v93, v32, 0xb8d2, -v93
	v_add_f16_e32 v89, v92, v89
	v_fmamk_f16 v92, v26, 0xb8d2, v100
	v_add_f16_e32 v90, v103, v90
	v_mul_f16_e32 v95, 0xbbb2, v45
	v_mul_f16_e32 v102, 0xb1e1, v41
	v_fmamk_f16 v108, v22, 0x3722, v94
	v_fma_f16 v94, v22, 0x3722, -v94
	v_add_f16_e32 v89, v93, v89
	v_fmamk_f16 v93, v32, 0x3b76, v101
	v_add_f16_e32 v90, v92, v90
	v_mul_f16_e32 v96, 0x3bf7, v51
	v_fmamk_f16 v109, v23, 0xb461, v95
	v_fma_f16 v95, v23, 0xb461, -v95
	v_add_f16_e32 v89, v94, v89
	v_fma_f16 v92, v20, 0xbacd, -v97
	v_add_f16_e32 v90, v93, v90
	v_fmamk_f16 v93, v22, 0xbbdd, v102
	v_mul_f16_e32 v94, 0x3964, v45
	v_fmamk_f16 v110, v38, 0x2de8, v96
	v_add_f16_e32 v89, v95, v89
	v_add_f16_e32 v92, v19, v92
	v_fma_f16 v95, v24, 0x3722, -v98
	v_fma_f16 v96, v38, 0x2de8, -v96
	v_add_f16_e32 v90, v93, v90
	v_fmamk_f16 v93, v23, 0x39e9, v94
	v_mul_f16_e32 v97, 0xba62, v52
	v_add_f16_e32 v92, v95, v92
	v_fma_f16 v95, v25, 0x2de8, -v99
	v_add_f16_e32 v89, v96, v89
	v_add_f16_e32 v90, v93, v90
	v_fmamk_f16 v93, v20, 0xb8d2, v97
	v_mul_f16_e32 v96, 0x3bb2, v21
	v_add_f16_e32 v92, v95, v92
	v_fma_f16 v95, v26, 0xb8d2, -v100
	v_mul_f16_e32 v98, 0xbbb2, v51
	v_add_f16_e32 v93, v19, v93
	v_fmamk_f16 v99, v24, 0xb461, v96
	v_mul_f16_e32 v100, 0xb5c8, v33
	v_add_f16_e32 v92, v95, v92
	v_fma_f16 v95, v32, 0x3b76, -v101
	v_fmamk_f16 v101, v38, 0xb461, v98
	v_add_f16_e32 v93, v99, v93
	v_fmamk_f16 v99, v25, 0x3b76, v100
	v_mul_f16_e32 v103, 0xb836, v34
	v_add_f16_e32 v92, v95, v92
	v_fma_f16 v95, v22, 0xbbdd, -v102
	v_add_f16_e32 v90, v101, v90
	v_add_f16_e32 v93, v99, v93
	v_fmamk_f16 v99, v26, 0xbacd, v103
	v_mul_f16_e32 v101, 0x3bf7, v35
	v_add_f16_e32 v92, v95, v92
	v_fma_f16 v94, v23, 0x39e9, -v94
	v_fma_f16 v95, v20, 0xb8d2, -v97
	v_add_f16_e32 v93, v99, v93
	v_fmamk_f16 v97, v32, 0x2de8, v101
	v_mul_f16_e32 v99, 0xb964, v41
	v_add_f16_e32 v92, v94, v92
	v_add_f16_e32 v94, v19, v95
	v_fma_f16 v95, v24, 0xb461, -v96
	v_add_f16_e32 v93, v97, v93
	v_fmamk_f16 v96, v22, 0x39e9, v99
	v_mul_f16_e32 v97, 0xb1e1, v45
	v_fma_f16 v98, v38, 0xb461, -v98
	v_add_f16_e32 v94, v95, v94
	v_fma_f16 v95, v25, 0x3b76, -v100
	v_add_f16_e32 v93, v96, v93
	v_fmamk_f16 v96, v23, 0xbbdd, v97
	v_add_f16_e32 v92, v98, v92
	v_mul_f16_e32 v98, 0xbbb2, v52
	v_add_f16_e32 v94, v95, v94
	v_fma_f16 v95, v26, 0xbacd, -v103
	v_add_f16_e32 v93, v96, v93
	v_mul_f16_e32 v96, 0x3b29, v51
	v_fmamk_f16 v100, v20, 0xb461, v98
	v_mul_f16_e32 v102, 0x3836, v21
	v_add_f16_e32 v94, v95, v94
	v_fma_f16 v95, v32, 0x2de8, -v101
	v_fmamk_f16 v101, v38, 0x3722, v96
	v_add_f16_e32 v100, v19, v100
	v_fmamk_f16 v103, v24, 0xbacd, v102
	v_mul_f16_e32 v104, 0x3964, v33
	v_add_f16_e32 v94, v95, v94
	v_fma_f16 v95, v22, 0x39e9, -v99
	v_add_f16_e32 v93, v101, v93
	v_add_f16_e32 v99, v103, v100
	v_fmamk_f16 v100, v25, 0x39e9, v104
	v_mul_f16_e32 v101, 0xbb29, v34
	v_add_f16_e32 v94, v95, v94
	v_fma_f16 v95, v23, 0xbbdd, -v97
	v_fma_f16 v97, v20, 0xb461, -v98
	v_add_f16_e32 v98, v100, v99
	v_fmamk_f16 v99, v26, 0x3722, v101
	v_mul_f16_e32 v100, 0xb1e1, v35
	v_add_f16_e32 v94, v95, v94
	v_add_f16_e32 v95, v19, v97
	v_fma_f16 v97, v24, 0xbacd, -v102
	v_add_f16_e32 v98, v99, v98
	v_fmamk_f16 v99, v32, 0xbbdd, v100
	v_mul_f16_e32 v102, 0x3bf7, v41
	v_fma_f16 v96, v38, 0x3722, -v96
	v_add_f16_e32 v95, v97, v95
	v_fma_f16 v97, v25, 0x39e9, -v104
	v_add_f16_e32 v98, v99, v98
	v_fmamk_f16 v99, v22, 0x2de8, v102
	v_mul_f16_e32 v103, 0xb5c8, v45
	v_add_f16_e32 v94, v96, v94
	v_add_f16_e32 v95, v97, v95
	v_fma_f16 v96, v26, 0x3722, -v101
	v_add_f16_e32 v97, v99, v98
	v_fmamk_f16 v98, v23, 0x3b76, v103
	v_mul_f16_e32 v99, 0xbbf7, v52
	v_mul_f16_e32 v105, 0x3bb2, v33
	v_add_f16_e32 v95, v96, v95
	v_fma_f16 v96, v32, 0xbbdd, -v100
	v_add_f16_e32 v97, v98, v97
	v_fmamk_f16 v98, v20, 0x2de8, v99
	v_mul_f16_e32 v100, 0xb1e1, v21
	v_pk_mul_f16 v81, 0x39e93722, v20 op_sel_hi:[1,0]
	v_add_f16_e32 v95, v96, v95
	v_fma_f16 v96, v22, 0x2de8, -v102
	v_add_f16_e32 v98, v19, v98
	v_fmamk_f16 v102, v24, 0xbbdd, v100
	v_mul_f16_e32 v101, 0xba62, v51
	v_fma_f16 v99, v20, 0x2de8, -v99
	v_add_f16_e32 v95, v96, v95
	v_fma_f16 v96, v23, 0x3b76, -v103
	v_add_f16_e32 v98, v102, v98
	v_fmamk_f16 v102, v25, 0xb461, v105
	v_mul_f16_e32 v103, 0x35c8, v34
	v_add_f16_e32 v80, v19, v72
	v_pk_mul_f16 v82, 0x2de8b8d2, v24 op_sel_hi:[1,0]
	v_fmamk_f16 v104, v38, 0xb8d2, v101
	v_add_f16_e32 v95, v96, v95
	v_fma_f16 v96, v38, 0xb8d2, -v101
	v_add_f16_e32 v98, v102, v98
	v_fmamk_f16 v101, v26, 0x3b76, v103
	v_add_f16_e32 v99, v19, v99
	v_fma_f16 v100, v24, 0xbbdd, -v100
	v_pk_add_f16 v54, v81, v54 neg_lo:[0,1] neg_hi:[0,1]
	v_pk_mul_f16 v83, 0xb8d2bbdd, v25 op_sel_hi:[1,0]
	v_add_f16_e32 v80, v80, v71
	v_add_f16_e32 v95, v96, v95
	;; [unrolled: 1-line block ×3, first 2 shown]
	v_mul_f16_e32 v96, 0xbb29, v35
	v_add_f16_e32 v98, v100, v99
	v_fma_f16 v99, v25, 0xb461, -v105
	v_add_f16_e32 v100, v19, v54
	v_pk_add_f16 v55, v82, v55 neg_lo:[0,1] neg_hi:[0,1]
	v_pk_mul_f16 v84, 0xbbddb461, v26 op_sel_hi:[1,0]
	v_add_f16_e32 v80, v80, v69
	v_fmamk_f16 v82, v32, 0x3722, v96
	v_mul_f16_e32 v101, 0xb836, v41
	v_add_f16_e32 v98, v99, v98
	v_fma_f16 v99, v26, 0x3b76, -v103
	v_add_f16_e32 v100, v55, v100
	v_pk_add_f16 v56, v83, v56 neg_lo:[0,1] neg_hi:[0,1]
	v_pk_mul_f16 v85, 0xbacd39e9, v32 op_sel_hi:[1,0]
	v_add_f16_e32 v80, v80, v67
	v_add_f16_e32 v81, v82, v81
	v_fmamk_f16 v82, v22, 0xbacd, v101
	v_add_f16_e32 v83, v99, v98
	v_fma_f16 v96, v32, 0x3722, -v96
	v_add_f16_e32 v98, v56, v100
	v_pk_add_f16 v58, v84, v58 neg_lo:[0,1] neg_hi:[0,1]
	v_pk_mul_f16 v86, 0xb4613b76, v22 op_sel_hi:[1,0]
	v_add_f16_e32 v80, v80, v66
	v_add_f16_e32 v81, v82, v81
	v_mul_f16_e32 v82, 0x3a62, v45
	v_add_f16_e32 v83, v96, v83
	v_fma_f16 v84, v22, 0xbacd, -v101
	v_add_f16_e32 v96, v58, v98
	v_pk_add_f16 v77, v85, v77 neg_lo:[0,1] neg_hi:[0,1]
	v_pk_mul_f16 v87, 0x37222de8, v23 op_sel_hi:[1,0]
	v_add_f16_e32 v80, v80, v64
	v_fmamk_f16 v85, v23, 0xb8d2, v82
	v_mul_f16_e32 v98, 0x3964, v51
	v_add_f16_e32 v83, v84, v83
	v_fma_f16 v82, v23, 0xb8d2, -v82
	v_add_f16_e32 v84, v77, v96
	v_pk_add_f16 v78, v86, v78 neg_lo:[0,1] neg_hi:[0,1]
	v_add_f16_e32 v80, v80, v63
	v_pk_add_f16 v79, v87, v79 neg_lo:[0,1] neg_hi:[0,1]
	v_add_f16_e32 v82, v82, v83
	v_fma_f16 v83, v38, 0x39e9, -v98
	v_add_f16_e32 v84, v78, v84
	v_mul_f16_e32 v52, 0xb5c8, v52
	v_add_f16_e32 v80, v80, v31
	v_add_f16_sdwa v54, v19, v54 dst_sel:DWORD dst_unused:UNUSED_PAD src0_sel:DWORD src1_sel:WORD_1
	v_add_f16_e32 v82, v83, v82
	v_add_f16_e32 v83, v79, v84
	v_fma_f16 v84, v20, 0x3b76, -v52
	v_mul_f16_e32 v21, 0xb964, v21
	v_add_f16_e32 v80, v80, v62
	v_add_f16_sdwa v54, v55, v54 dst_sel:DWORD dst_unused:UNUSED_PAD src0_sel:WORD_1 src1_sel:DWORD
	v_fmamk_f16 v20, v20, 0x3b76, v52
	v_add_f16_e32 v52, v19, v84
	v_fma_f16 v55, v24, 0x39e9, -v21
	v_mul_f16_e32 v33, 0xbb29, v33
	v_add_f16_e32 v80, v80, v65
	v_add_f16_e32 v19, v19, v20
	v_fmamk_f16 v20, v24, 0x39e9, v21
	v_add_f16_e32 v21, v55, v52
	v_fma_f16 v24, v25, 0x3722, -v33
	v_mul_f16_e32 v34, 0xbbf7, v34
	v_add_f16_e32 v80, v80, v68
	v_add_f16_e32 v19, v20, v19
	v_fmamk_f16 v20, v25, 0x3722, v33
	v_add_f16_e32 v21, v24, v21
	v_fma_f16 v24, v26, 0x2de8, -v34
	v_mul_f16_e32 v25, 0xbbb2, v35
	v_add_f16_sdwa v54, v56, v54 dst_sel:DWORD dst_unused:UNUSED_PAD src0_sel:WORD_1 src1_sel:DWORD
	v_add_f16_e32 v80, v80, v70
	v_add_f16_e32 v19, v20, v19
	v_fmamk_f16 v20, v26, 0x2de8, v34
	v_add_f16_e32 v21, v24, v21
	v_fma_f16 v24, v32, 0xb461, -v25
	v_mul_f16_e32 v26, 0xba62, v41
	v_add_f16_sdwa v52, v58, v54 dst_sel:DWORD dst_unused:UNUSED_PAD src0_sel:WORD_1 src1_sel:DWORD
	v_add_f16_e32 v80, v80, v73
	v_add_f16_e32 v19, v20, v19
	v_fmamk_f16 v20, v32, 0xb461, v25
	v_add_f16_e32 v21, v24, v21
	v_fma_f16 v24, v22, 0xb8d2, -v26
	v_mul_f16_e32 v25, 0xb836, v45
	v_mul_u32_u24_e32 v32, 34, v30
	v_add_f16_sdwa v33, v77, v52 dst_sel:DWORD dst_unused:UNUSED_PAD src0_sel:WORD_1 src1_sel:DWORD
	v_add_f16_e32 v80, v80, v76
	v_add_f16_e32 v19, v20, v19
	v_fmamk_f16 v20, v22, 0xb8d2, v26
	v_add_f16_e32 v21, v24, v21
	v_fma_f16 v22, v23, 0xbacd, -v25
	v_or_b32_e32 v24, v32, v29
	v_mul_f16_e32 v26, 0xb1e1, v51
	v_pk_mul_f16 v88, 0x3b76bacd, v38 op_sel_hi:[1,0]
	v_add_f16_sdwa v33, v78, v33 dst_sel:DWORD dst_unused:UNUSED_PAD src0_sel:WORD_1 src1_sel:DWORD
	v_add_f16_e32 v91, v108, v91
	v_add_f16_e32 v80, v80, v75
	;; [unrolled: 1-line block ×3, first 2 shown]
	v_fmamk_f16 v20, v23, 0xbacd, v25
	v_add_f16_e32 v21, v22, v21
	v_lshlrev_b32_e32 v22, 1, v24
	v_fma_f16 v23, v38, 0xbbdd, -v26
	v_pk_add_f16 v53, v88, v53 neg_lo:[0,1] neg_hi:[0,1]
	v_add_f16_sdwa v24, v79, v33 dst_sel:DWORD dst_unused:UNUSED_PAD src0_sel:WORD_1 src1_sel:DWORD
	v_add_f16_e32 v91, v109, v91
	v_add_f16_e32 v80, v80, v74
	;; [unrolled: 1-line block ×3, first 2 shown]
	v_fmamk_f16 v85, v38, 0x39e9, v98
	v_add_f16_e32 v19, v20, v19
	v_fmamk_f16 v20, v38, 0xbbdd, v26
	v_add3_u32 v22, 0, v22, v15
	v_add_f16_e32 v21, v23, v21
	v_add_f16_sdwa v23, v53, v24 dst_sel:DWORD dst_unused:UNUSED_PAD src0_sel:WORD_1 src1_sel:DWORD
	v_add_f16_e32 v24, v53, v83
	v_add_f16_e32 v91, v110, v91
	;; [unrolled: 1-line block ×5, first 2 shown]
	ds_write_b16 v22, v80
	ds_write_b16 v22, v21 offset:4
	ds_write_b16 v22, v23 offset:8
	;; [unrolled: 1-line block ×14, first 2 shown]
	ds_write_b16_d16_hi v22, v27 offset:60
	ds_write_b16 v22, v19 offset:64
.LBB0_24:
	s_or_b32 exec_lo, exec_lo, s4
	v_add_nc_u32_e32 v26, 0, v15
	s_waitcnt lgkmcnt(0)
	s_barrier
	buffer_gl0_inv
	v_add3_u32 v20, 0, v3, v15
	v_lshl_add_u32 v21, v17, 1, v26
	v_lshl_add_u32 v22, v14, 1, v26
	;; [unrolled: 1-line block ×5, first 2 shown]
	v_add_nc_u32_e32 v19, v26, v3
	v_lshl_add_u32 v26, v16, 1, v26
	ds_read_u16 v51, v21
	ds_read_u16 v52, v22
	;; [unrolled: 1-line block ×7, first 2 shown]
	ds_read_u16 v45, v20 offset:1020
	ds_read_u16 v41, v20 offset:1156
	ds_read_u16 v38, v20 offset:1292
	ds_read_u16 v35, v20 offset:1428
	ds_read_u16 v34, v20 offset:1564
	ds_read_u16 v33, v20 offset:1700
	ds_read_u16 v32, v20 offset:1836
	s_and_saveexec_b32 s4, s0
	s_cbranch_execz .LBB0_26
; %bb.25:
	ds_read_u16 v27, v20 offset:952
	s_waitcnt lgkmcnt(0)
	ds_read_u16_d16_hi v27, v20 offset:1972
.LBB0_26:
	s_or_b32 exec_lo, exec_lo, s4
	v_sub_f16_e32 v85, v72, v74
	v_add_f16_e32 v83, v61, v44
	v_sub_f16_e32 v84, v71, v75
	v_add_f16_e32 v82, v60, v43
	v_sub_f16_e32 v81, v69, v76
	v_pk_mul_f16 v72, 0xb964bb29, v85 op_sel_hi:[1,0]
	v_add_f16_e32 v80, v59, v40
	v_pk_mul_f16 v71, 0xbbf7ba62, v84 op_sel_hi:[1,0]
	v_sub_f16_e32 v79, v67, v73
	v_pk_mul_f16 v67, 0xba6231e1, v81 op_sel_hi:[1,0]
	v_pk_fma_f16 v69, 0x39e93722, v83, v72 op_sel_hi:[1,0,1] neg_lo:[0,0,1] neg_hi:[0,0,1]
	v_add_f16_e32 v78, v57, v37
	v_pk_fma_f16 v73, 0x2de8b8d2, v82, v71 op_sel_hi:[1,0,1] neg_lo:[0,0,1] neg_hi:[0,0,1]
	v_sub_f16_e32 v77, v66, v70
	v_pk_mul_f16 v66, 0xb1e13bb2, v79 op_sel_hi:[1,0]
	v_pk_add_f16 v69, v28, v69 op_sel_hi:[0,1]
	v_pk_fma_f16 v70, 0xb8d2bbdd, v80, v67 op_sel_hi:[1,0,1] neg_lo:[0,0,1] neg_hi:[0,0,1]
	v_add_f16_e32 v76, v50, v36
	v_sub_f16_e32 v75, v64, v68
	v_pk_mul_f16 v68, 0x38363964, v77 op_sel_hi:[1,0]
	v_pk_add_f16 v69, v73, v69
	v_pk_fma_f16 v64, 0xbbddb461, v78, v66 op_sel_hi:[1,0,1] neg_lo:[0,0,1] neg_hi:[0,0,1]
	v_add_f16_e32 v74, v49, v39
	v_sub_f16_e32 v73, v63, v65
	v_pk_fma_f16 v63, 0xbacd39e9, v76, v68 op_sel_hi:[1,0,1] neg_lo:[0,0,1] neg_hi:[0,0,1]
	v_pk_add_f16 v70, v70, v69
	v_pk_mul_f16 v69, 0x3bb2b5c8, v75 op_sel_hi:[1,0]
	s_waitcnt lgkmcnt(0)
	v_pk_mul_f16 v65, 0x3b29bbf7, v73 op_sel_hi:[1,0]
	s_barrier
	v_pk_add_f16 v64, v64, v70
	v_add_f16_e32 v70, v48, v42
	v_pk_fma_f16 v86, 0xb4613b76, v74, v69 op_sel_hi:[1,0,1] neg_lo:[0,0,1] neg_hi:[0,0,1]
	buffer_gl0_inv
	v_pk_add_f16 v64, v63, v64
	v_sub_f16_e32 v63, v31, v62
	v_add_f16_e32 v62, v47, v46
	v_pk_fma_f16 v31, 0x37222de8, v70, v65 op_sel_hi:[1,0,1] neg_lo:[0,0,1] neg_hi:[0,0,1]
	v_pk_add_f16 v86, v86, v64
	v_pk_mul_f16 v64, 0x35c8b836, v63 op_sel_hi:[1,0]
	v_pk_add_f16 v31, v31, v86
	v_pk_fma_f16 v86, 0x3b76bacd, v62, v64 op_sel_hi:[1,0,1] neg_lo:[0,0,1] neg_hi:[0,0,1]
	v_pk_add_f16 v31, v86, v31
	s_and_saveexec_b32 s4, s1
	s_cbranch_execz .LBB0_28
; %bb.27:
	v_add_f16_e32 v61, v28, v61
	v_mul_f16_e32 v93, 0xbbf7, v85
	v_mul_f16_e32 v94, 0xbbb2, v85
	v_mul_f16_e32 v95, 0xba62, v85
	v_mul_f16_e32 v99, 0x3b29, v84
	v_add_f16_e32 v60, v61, v60
	v_fmamk_f16 v100, v83, 0x2de8, v93
	v_fma_f16 v93, v83, 0x2de8, -v93
	v_pk_mul_f16 v86, 0x39e93722, v83 op_sel_hi:[1,0]
	v_mul_f16_e32 v96, 0xb964, v84
	v_add_f16_e32 v59, v60, v59
	v_mul_f16_e32 v60, 0xb5c8, v85
	v_mul_f16_e32 v97, 0xb1e1, v84
	;; [unrolled: 1-line block ×3, first 2 shown]
	v_fmamk_f16 v101, v83, 0xb8d2, v95
	v_add_f16_e32 v57, v59, v57
	v_mul_f16_e32 v59, 0xb836, v85
	v_mul_f16_e32 v85, 0xb1e1, v85
	v_fma_f16 v95, v83, 0xb8d2, -v95
	v_pk_mul_f16 v87, 0x2de8b8d2, v82 op_sel_hi:[1,0]
	v_add_f16_e32 v50, v57, v50
	v_mul_f16_e32 v57, 0x3836, v84
	v_mul_f16_e32 v84, 0x35c8, v84
	v_fmamk_f16 v102, v83, 0xbbdd, v85
	v_fmamk_f16 v103, v82, 0xb461, v98
	v_add_f16_e32 v49, v50, v49
	v_fmamk_f16 v50, v83, 0x3b76, v60
	v_fma_f16 v60, v83, 0x3b76, -v60
	v_fma_f16 v98, v82, 0xb461, -v98
	v_add_f16_e32 v100, v28, v100
	v_add_f16_e32 v48, v49, v48
	v_fmamk_f16 v49, v83, 0xb461, v94
	v_fma_f16 v94, v83, 0xb461, -v94
	v_add_f16_e32 v50, v28, v50
	v_add_f16_e32 v60, v28, v60
	;; [unrolled: 1-line block ×3, first 2 shown]
	v_fmamk_f16 v48, v83, 0xbacd, v59
	v_fma_f16 v59, v83, 0xbacd, -v59
	v_fma_f16 v83, v83, 0xbbdd, -v85
	v_add_f16_e32 v49, v28, v49
	v_add_f16_e32 v46, v47, v46
	;; [unrolled: 1-line block ×4, first 2 shown]
	v_fmamk_f16 v47, v82, 0x39e9, v96
	v_fma_f16 v85, v82, 0x39e9, -v96
	v_add_f16_e32 v42, v46, v42
	v_fmamk_f16 v46, v82, 0xbacd, v57
	v_fma_f16 v57, v82, 0xbacd, -v57
	v_fmamk_f16 v96, v82, 0xbbdd, v97
	v_fma_f16 v97, v82, 0xbbdd, -v97
	v_add_f16_e32 v39, v42, v39
	v_fmamk_f16 v42, v82, 0x3722, v99
	v_add_f16_e32 v47, v47, v50
	v_add_f16_e32 v50, v85, v60
	v_add_f16_e32 v60, v96, v100
	v_add_f16_e32 v36, v39, v36
	v_add_f16_e32 v39, v28, v93
	v_add_f16_e32 v93, v28, v94
	v_add_f16_e32 v42, v42, v48
	v_mul_f16_e32 v48, 0xbb29, v81
	v_add_f16_e32 v36, v36, v37
	v_add_f16_e32 v37, v28, v95
	;; [unrolled: 1-line block ×3, first 2 shown]
	v_pk_mul_f16 v88, 0xb8d2bbdd, v80 op_sel_hi:[1,0]
	v_add_f16_e32 v95, v28, v102
	v_add_f16_e32 v36, v36, v40
	;; [unrolled: 1-line block ×3, first 2 shown]
	v_fmamk_f16 v83, v80, 0x3722, v48
	v_fma_f16 v48, v80, 0x3722, -v48
	v_add_f16_e32 v37, v98, v37
	v_add_f16_e32 v36, v36, v43
	;; [unrolled: 1-line block ×4, first 2 shown]
	v_fmamk_f16 v57, v82, 0x3b76, v84
	v_add_f16_e32 v47, v83, v47
	v_add_f16_e32 v36, v36, v44
	v_fma_f16 v44, v82, 0x3722, -v99
	v_mul_f16_e32 v83, 0x3964, v81
	v_add_f16_e32 v48, v48, v50
	v_add_f16_e32 v57, v57, v95
	v_pk_mul_f16 v89, 0xbbddb461, v78 op_sel_hi:[1,0]
	v_add_f16_e32 v44, v44, v59
	v_fma_f16 v59, v82, 0x3b76, -v84
	v_mul_f16_e32 v82, 0x3bb2, v81
	v_pk_mul_f16 v61, 0xbacd39e9, v76 op_sel_hi:[1,0]
	v_add_f16_e32 v94, v28, v101
	v_pk_mul_f16 v90, 0xb4613b76, v74 op_sel_hi:[1,0]
	v_add_f16_e32 v40, v59, v40
	v_fmamk_f16 v59, v80, 0xb461, v82
	v_fma_f16 v50, v80, 0xb461, -v82
	v_fmamk_f16 v82, v80, 0x39e9, v83
	v_fma_f16 v83, v80, 0x39e9, -v83
	v_add_f16_e32 v49, v103, v94
	v_add_f16_e32 v59, v59, v60
	v_mul_f16_e32 v60, 0xb5c8, v81
	v_add_f16_e32 v39, v50, v39
	v_mul_f16_e32 v50, 0xbbf7, v81
	;; [unrolled: 2-line block ×3, first 2 shown]
	v_fmamk_f16 v84, v80, 0x3b76, v60
	v_fma_f16 v60, v80, 0x3b76, -v60
	v_fmamk_f16 v82, v80, 0x2de8, v50
	v_fma_f16 v50, v80, 0x2de8, -v50
	v_add_f16_e32 v46, v83, v46
	v_add_f16_e32 v49, v84, v49
	;; [unrolled: 1-line block ×3, first 2 shown]
	v_mul_f16_e32 v60, 0xbbf7, v79
	v_add_f16_e32 v42, v82, v42
	v_fmamk_f16 v82, v80, 0xbacd, v81
	v_add_f16_e32 v44, v50, v44
	v_fma_f16 v50, v80, 0xbacd, -v81
	v_mul_f16_e32 v80, 0x35c8, v79
	v_fmamk_f16 v81, v78, 0x2de8, v60
	v_fma_f16 v60, v78, 0x2de8, -v60
	v_add_f16_e32 v57, v82, v57
	v_add_f16_e32 v40, v50, v40
	v_fmamk_f16 v50, v78, 0x3b76, v80
	v_add_f16_e32 v47, v81, v47
	v_mul_f16_e32 v81, 0xbb29, v79
	v_add_f16_e32 v48, v60, v48
	v_fma_f16 v60, v78, 0x3b76, -v80
	v_add_f16_e32 v50, v50, v59
	v_mul_f16_e32 v59, 0xb836, v79
	v_fmamk_f16 v80, v78, 0x3722, v81
	v_fma_f16 v81, v78, 0x3722, -v81
	v_add_f16_e32 v39, v60, v39
	v_mul_f16_e32 v60, 0x3a62, v79
	v_fmamk_f16 v82, v78, 0xbacd, v59
	v_add_f16_e32 v43, v80, v43
	v_fma_f16 v59, v78, 0xbacd, -v59
	v_mul_f16_e32 v79, 0x3964, v79
	v_fmamk_f16 v80, v78, 0xb8d2, v60
	v_fma_f16 v60, v78, 0xb8d2, -v60
	v_add_f16_e32 v46, v81, v46
	v_add_f16_e32 v37, v59, v37
	v_mul_f16_e32 v59, 0xbbb2, v77
	v_add_f16_e32 v42, v80, v42
	v_fmamk_f16 v80, v78, 0x39e9, v79
	v_add_f16_e32 v44, v60, v44
	v_fma_f16 v60, v78, 0x39e9, -v79
	v_mul_f16_e32 v78, 0xbb29, v77
	v_fmamk_f16 v79, v76, 0xb461, v59
	v_fma_f16 v59, v76, 0xb461, -v59
	v_add_f16_e32 v57, v80, v57
	v_add_f16_e32 v40, v60, v40
	v_fmamk_f16 v60, v76, 0x3722, v78
	v_add_f16_e32 v47, v79, v47
	v_mul_f16_e32 v79, 0xb1e1, v77
	v_add_f16_e32 v48, v59, v48
	v_fma_f16 v59, v76, 0x3722, -v78
	v_add_f16_e32 v50, v60, v50
	v_mul_f16_e32 v60, 0x3bf7, v77
	v_fmamk_f16 v78, v76, 0xbbdd, v79
	v_fma_f16 v79, v76, 0xbbdd, -v79
	v_add_f16_e32 v39, v59, v39
	v_mul_f16_e32 v59, 0xb5c8, v77
	v_fmamk_f16 v80, v76, 0x2de8, v60
	;; [unrolled: 4-line block ×3, first 2 shown]
	v_fma_f16 v59, v76, 0x3b76, -v59
	v_add_f16_e32 v37, v60, v37
	v_mul_f16_e32 v60, 0xba62, v75
	v_add_f16_e32 v49, v82, v49
	v_add_f16_e32 v42, v78, v42
	v_fmamk_f16 v78, v76, 0xb8d2, v77
	v_add_f16_e32 v44, v59, v44
	v_fma_f16 v59, v76, 0xb8d2, -v77
	v_mul_f16_e32 v76, 0xb836, v75
	v_fmamk_f16 v77, v74, 0xb8d2, v60
	v_fma_f16 v60, v74, 0xb8d2, -v60
	v_add_f16_e32 v57, v78, v57
	v_add_f16_e32 v40, v59, v40
	v_fmamk_f16 v59, v74, 0xbacd, v76
	v_add_f16_e32 v47, v77, v47
	v_mul_f16_e32 v77, 0x3bf7, v75
	v_add_f16_e32 v48, v60, v48
	v_fma_f16 v60, v74, 0xbacd, -v76
	v_add_f16_e32 v50, v59, v50
	v_mul_f16_e32 v59, 0xb964, v75
	v_fmamk_f16 v76, v74, 0x2de8, v77
	v_fma_f16 v77, v74, 0x2de8, -v77
	v_add_f16_e32 v39, v60, v39
	v_mul_f16_e32 v60, 0xb1e1, v75
	v_fmamk_f16 v78, v74, 0x39e9, v59
	v_add_f16_e32 v43, v76, v43
	v_fma_f16 v59, v74, 0x39e9, -v59
	v_mul_f16_e32 v75, 0x3b29, v75
	v_fmamk_f16 v76, v74, 0xbbdd, v60
	v_fma_f16 v60, v74, 0xbbdd, -v60
	v_add_f16_e32 v46, v79, v46
	v_add_f16_e32 v37, v59, v37
	v_mul_f16_e32 v59, 0xb836, v73
	v_add_f16_e32 v42, v76, v42
	v_fmamk_f16 v76, v74, 0x3722, v75
	v_fma_f16 v74, v74, 0x3722, -v75
	v_add_f16_e32 v44, v60, v44
	v_mul_f16_e32 v60, 0x3a62, v73
	v_fmamk_f16 v75, v70, 0xbacd, v59
	v_fma_f16 v59, v70, 0xbacd, -v59
	v_add_f16_e32 v40, v74, v40
	v_mul_f16_e32 v74, 0xb5c8, v73
	v_add_f16_e32 v49, v80, v49
	v_add_f16_e32 v46, v77, v46
	;; [unrolled: 1-line block ×3, first 2 shown]
	v_fmamk_f16 v76, v70, 0xb8d2, v60
	v_add_f16_e32 v47, v75, v47
	v_add_f16_e32 v48, v59, v48
	v_fma_f16 v59, v70, 0xb8d2, -v60
	v_mul_f16_e32 v60, 0xb1e1, v73
	v_fmamk_f16 v75, v70, 0x3b76, v74
	v_fma_f16 v74, v70, 0x3b76, -v74
	v_pk_add_f16 v72, v72, v86
	v_add_f16_e32 v49, v78, v49
	v_add_f16_e32 v39, v59, v39
	v_fmamk_f16 v59, v70, 0xbbdd, v60
	v_add_f16_e32 v46, v74, v46
	v_add_f16_sdwa v74, v28, v72 dst_sel:DWORD dst_unused:UNUSED_PAD src0_sel:DWORD src1_sel:WORD_1
	v_pk_add_f16 v71, v71, v87
	v_add_f16_e32 v28, v28, v72
	v_add_f16_e32 v49, v59, v49
	v_fma_f16 v59, v70, 0xbbdd, -v60
	v_mul_f16_e32 v60, 0x3964, v73
	v_add_f16_sdwa v72, v71, v74 dst_sel:DWORD dst_unused:UNUSED_PAD src0_sel:WORD_1 src1_sel:DWORD
	v_pk_add_f16 v67, v67, v88
	v_add_f16_e32 v28, v71, v28
	v_add_f16_e32 v37, v59, v37
	v_fmamk_f16 v59, v70, 0x39e9, v60
	v_fma_f16 v60, v70, 0x39e9, -v60
	v_add_f16_sdwa v71, v67, v72 dst_sel:DWORD dst_unused:UNUSED_PAD src0_sel:WORD_1 src1_sel:DWORD
	v_pk_add_f16 v66, v66, v89
	v_add_f16_e32 v28, v67, v28
	v_add_f16_e32 v42, v59, v42
	v_mul_f16_e32 v59, 0xbbb2, v73
	v_add_f16_e32 v44, v60, v44
	v_add_f16_sdwa v60, v66, v71 dst_sel:DWORD dst_unused:UNUSED_PAD src0_sel:WORD_1 src1_sel:DWORD
	v_pk_add_f16 v61, v68, v61
	v_add_f16_e32 v28, v66, v28
	v_pk_mul_f16 v91, 0x37222de8, v70 op_sel_hi:[1,0]
	v_fmamk_f16 v67, v70, 0xb461, v59
	v_fma_f16 v59, v70, 0xb461, -v59
	v_mul_f16_e32 v68, 0xb1e1, v63
	v_add_f16_sdwa v60, v61, v60 dst_sel:DWORD dst_unused:UNUSED_PAD src0_sel:WORD_1 src1_sel:DWORD
	v_pk_add_f16 v66, v69, v90
	v_add_f16_e32 v28, v61, v28
	v_pk_mul_f16 v92, 0x3b76bacd, v62 op_sel_hi:[1,0]
	v_add_f16_e32 v40, v59, v40
	v_fma_f16 v61, v62, 0xbbdd, -v68
	v_add_f16_sdwa v59, v66, v60 dst_sel:DWORD dst_unused:UNUSED_PAD src0_sel:WORD_1 src1_sel:DWORD
	v_pk_add_f16 v60, v65, v91
	v_add_f16_e32 v28, v66, v28
	v_mul_f16_e32 v65, 0x3964, v63
	v_add_f16_e32 v50, v76, v50
	v_pk_add_f16 v64, v64, v92
	v_add_f16_sdwa v59, v60, v59 dst_sel:DWORD dst_unused:UNUSED_PAD src0_sel:WORD_1 src1_sel:DWORD
	v_add_f16_e32 v28, v60, v28
	v_add_f16_e32 v48, v61, v48
	v_fmamk_f16 v60, v62, 0x39e9, v65
	v_mul_f16_e32 v61, 0xba62, v63
	v_add_f16_e32 v43, v75, v43
	v_add_f16_sdwa v59, v64, v59 dst_sel:DWORD dst_unused:UNUSED_PAD src0_sel:WORD_1 src1_sel:DWORD
	v_add_f16_e32 v28, v64, v28
	v_fma_f16 v64, v62, 0x39e9, -v65
	v_add_f16_e32 v50, v60, v50
	v_fmamk_f16 v60, v62, 0xb8d2, v61
	v_mul_f16_e32 v65, 0x3b29, v63
	v_mul_u32_u24_e32 v30, 34, v30
	v_fma_f16 v61, v62, 0xb8d2, -v61
	v_add_f16_e32 v57, v67, v57
	v_add_f16_e32 v43, v60, v43
	v_fmamk_f16 v60, v62, 0x3722, v65
	v_or_b32_e32 v29, v30, v29
	v_add_f16_e32 v46, v61, v46
	v_fma_f16 v61, v62, 0x3722, -v65
	v_mul_f16_e32 v30, 0xbbb2, v63
	v_add_f16_e32 v49, v60, v49
	v_mul_f16_e32 v60, 0x3bf7, v63
	v_lshlrev_b32_e32 v29, 1, v29
	v_fmamk_f16 v67, v62, 0xbbdd, v68
	v_add_f16_e32 v37, v61, v37
	v_fmamk_f16 v61, v62, 0xb461, v30
	v_fma_f16 v30, v62, 0xb461, -v30
	v_fmamk_f16 v63, v62, 0x2de8, v60
	v_fma_f16 v60, v62, 0x2de8, -v60
	v_add3_u32 v29, 0, v29, v15
	v_add_f16_e32 v47, v67, v47
	v_add_f16_e32 v39, v64, v39
	;; [unrolled: 1-line block ×6, first 2 shown]
	ds_write_b16 v29, v36
	ds_write_b16 v29, v47 offset:4
	ds_write_b16 v29, v59 offset:8
	;; [unrolled: 1-line block ×14, first 2 shown]
	ds_write_b16_d16_hi v29, v31 offset:60
	ds_write_b16 v29, v48 offset:64
.LBB0_28:
	s_or_b32 exec_lo, exec_lo, s4
	s_waitcnt lgkmcnt(0)
	s_barrier
	buffer_gl0_inv
	ds_read_u16 v28, v21
	ds_read_u16 v30, v22
	;; [unrolled: 1-line block ×7, first 2 shown]
	ds_read_u16 v49, v20 offset:1020
	ds_read_u16 v50, v20 offset:1156
	ds_read_u16 v44, v20 offset:1292
	ds_read_u16 v46, v20 offset:1428
	ds_read_u16 v47, v20 offset:1564
	ds_read_u16 v48, v20 offset:1700
	ds_read_u16 v43, v20 offset:1836
	s_and_saveexec_b32 s1, s0
	s_cbranch_execz .LBB0_30
; %bb.29:
	ds_read_u16 v31, v20 offset:952
	s_waitcnt lgkmcnt(0)
	ds_read_u16_d16_hi v31, v20 offset:1972
.LBB0_30:
	s_or_b32 exec_lo, exec_lo, s1
	v_and_b32_e32 v57, 0xff, v17
	v_and_b32_e32 v29, 0xff, v14
	v_mov_b32_e32 v67, 0xf0f1
	v_subrev_nc_u32_e32 v59, 34, v12
	v_mov_b32_e32 v60, 0
	v_mul_lo_u16 v57, 0xf1, v57
	v_mul_lo_u16 v62, 0xf1, v29
	v_mul_u32_u24_sdwa v63, v10, v67 dst_sel:DWORD dst_unused:UNUSED_PAD src0_sel:WORD_0 src1_sel:DWORD
	v_mul_u32_u24_sdwa v64, v4, v67 dst_sel:DWORD dst_unused:UNUSED_PAD src0_sel:WORD_0 src1_sel:DWORD
	v_mul_u32_u24_sdwa v65, v16, v67 dst_sel:DWORD dst_unused:UNUSED_PAD src0_sel:WORD_0 src1_sel:DWORD
	v_lshrrev_b16 v69, 13, v57
	v_mul_u32_u24_sdwa v57, v7, v67 dst_sel:DWORD dst_unused:UNUSED_PAD src0_sel:WORD_0 src1_sel:DWORD
	v_cndmask_b32_e64 v59, v59, v12, s0
	v_lshrrev_b16 v70, 13, v62
	v_lshrrev_b32_e32 v71, 21, v63
	v_lshrrev_b32_e32 v73, 21, v64
	;; [unrolled: 1-line block ×3, first 2 shown]
	v_mul_lo_u16 v66, v69, 34
	v_lshrrev_b32_e32 v75, 21, v65
	v_lshlrev_b64 v[60:61], 2, v[59:60]
	v_mul_lo_u16 v57, v70, 34
	v_mul_lo_u16 v62, v71, 34
	;; [unrolled: 1-line block ×4, first 2 shown]
	v_mov_b32_e32 v68, 2
	v_sub_nc_u16 v74, v17, v66
	v_mul_lo_u16 v65, v75, 34
	v_sub_nc_u16 v76, v14, v57
	v_add_co_u32 v60, s1, s8, v60
	v_sub_nc_u16 v77, v10, v62
	v_sub_nc_u16 v78, v7, v63
	v_add_co_ci_u32_e64 v61, s1, s9, v61, s1
	v_sub_nc_u16 v79, v4, v64
	v_lshlrev_b32_sdwa v17, v68, v74 dst_sel:DWORD dst_unused:UNUSED_PAD src0_sel:DWORD src1_sel:BYTE_0
	v_sub_nc_u16 v80, v16, v65
	v_lshlrev_b32_sdwa v4, v68, v76 dst_sel:DWORD dst_unused:UNUSED_PAD src0_sel:DWORD src1_sel:BYTE_0
	v_lshlrev_b32_sdwa v16, v68, v77 dst_sel:DWORD dst_unused:UNUSED_PAD src0_sel:DWORD src1_sel:WORD_0
	v_lshlrev_b32_sdwa v57, v68, v78 dst_sel:DWORD dst_unused:UNUSED_PAD src0_sel:DWORD src1_sel:WORD_0
	global_load_dword v65, v[60:61], off offset:128
	v_lshlrev_b32_sdwa v60, v68, v79 dst_sel:DWORD dst_unused:UNUSED_PAD src0_sel:DWORD src1_sel:WORD_0
	v_lshlrev_b32_sdwa v61, v68, v80 dst_sel:DWORD dst_unused:UNUSED_PAD src0_sel:DWORD src1_sel:WORD_0
	s_clause 0x5
	global_load_dword v66, v17, s[8:9] offset:128
	global_load_dword v17, v4, s[8:9] offset:128
	;; [unrolled: 1-line block ×6, first 2 shown]
	v_mul_u32_u24_sdwa v4, v18, v67 dst_sel:DWORD dst_unused:UNUSED_PAD src0_sel:WORD_0 src1_sel:DWORD
	v_cmp_lt_u32_e64 s1, 33, v12
	v_lshlrev_b32_e32 v67, 1, v59
	v_mad_u32_u24 v73, 0x88, v73, 0
	v_mad_u32_u24 v75, 0x88, v75, 0
	v_lshrrev_b32_e32 v4, 21, v4
	v_mad_u32_u24 v81, 0x88, v72, 0
	s_waitcnt lgkmcnt(0)
	v_lshrrev_b32_e32 v59, 16, v31
	v_lshrrev_b32_e32 v60, 16, v27
	v_mul_lo_u16 v4, v4, 34
	v_sub_nc_u16 v4, v18, v4
	v_lshlrev_b32_sdwa v18, v68, v4 dst_sel:DWORD dst_unused:UNUSED_PAD src0_sel:DWORD src1_sel:WORD_0
	v_and_b32_e32 v68, 0xffff, v70
	global_load_dword v57, v18, s[8:9] offset:128
	v_cndmask_b32_e64 v18, 0, 0x88, s1
	v_mad_u32_u24 v68, 0x88, v68, 0
	s_waitcnt vmcnt(0)
	s_barrier
	buffer_gl0_inv
	v_add_nc_u32_e32 v61, 0, v18
	v_mov_b32_e32 v18, 1
	v_add3_u32 v61, v61, v67, v15
	v_and_b32_e32 v67, 0xffff, v69
	v_mad_u32_u24 v69, 0x88, v71, 0
	v_lshlrev_b32_sdwa v70, v18, v74 dst_sel:DWORD dst_unused:UNUSED_PAD src0_sel:DWORD src1_sel:BYTE_0
	v_lshlrev_b32_sdwa v71, v18, v76 dst_sel:DWORD dst_unused:UNUSED_PAD src0_sel:DWORD src1_sel:BYTE_0
	v_lshlrev_b32_sdwa v74, v18, v77 dst_sel:DWORD dst_unused:UNUSED_PAD src0_sel:DWORD src1_sel:WORD_0
	v_mad_u32_u24 v67, 0x88, v67, 0
	v_lshlrev_b32_sdwa v77, v18, v79 dst_sel:DWORD dst_unused:UNUSED_PAD src0_sel:DWORD src1_sel:WORD_0
	v_lshlrev_b32_sdwa v76, v18, v78 dst_sel:DWORD dst_unused:UNUSED_PAD src0_sel:DWORD src1_sel:WORD_0
	;; [unrolled: 1-line block ×3, first 2 shown]
	v_add3_u32 v72, v67, v70, v15
	v_add3_u32 v70, v68, v71, v15
	;; [unrolled: 1-line block ×6, first 2 shown]
	v_mul_f16_sdwa v74, v50, v66 dst_sel:DWORD dst_unused:UNUSED_PAD src0_sel:DWORD src1_sel:WORD_1
	v_mul_f16_sdwa v75, v44, v17 dst_sel:DWORD dst_unused:UNUSED_PAD src0_sel:DWORD src1_sel:WORD_1
	v_mul_f16_sdwa v79, v49, v65 dst_sel:DWORD dst_unused:UNUSED_PAD src0_sel:DWORD src1_sel:WORD_1
	v_mul_f16_sdwa v76, v46, v62 dst_sel:DWORD dst_unused:UNUSED_PAD src0_sel:DWORD src1_sel:WORD_1
	v_mul_f16_sdwa v77, v47, v63 dst_sel:DWORD dst_unused:UNUSED_PAD src0_sel:DWORD src1_sel:WORD_1
	v_mul_f16_sdwa v78, v48, v64 dst_sel:DWORD dst_unused:UNUSED_PAD src0_sel:DWORD src1_sel:WORD_1
	v_fma_f16 v74, v41, v66, -v74
	v_fma_f16 v73, v45, v65, -v79
	v_mul_f16_sdwa v79, v43, v16 dst_sel:DWORD dst_unused:UNUSED_PAD src0_sel:DWORD src1_sel:WORD_1
	v_fma_f16 v75, v38, v17, -v75
	v_fma_f16 v76, v35, v62, -v76
	;; [unrolled: 1-line block ×3, first 2 shown]
	v_sub_f16_e32 v73, v58, v73
	v_fma_f16 v78, v33, v64, -v78
	v_fma_f16 v79, v32, v16, -v79
	v_fma_f16 v58, v58, 2.0, -v73
	ds_write_b16 v61, v73 offset:68
	v_sub_f16_e32 v73, v51, v74
	v_sub_f16_e32 v74, v52, v75
	;; [unrolled: 1-line block ×6, first 2 shown]
	v_fma_f16 v51, v51, 2.0, -v73
	v_fma_f16 v52, v52, 2.0, -v74
	;; [unrolled: 1-line block ×3, first 2 shown]
	ds_write_b16 v61, v58
	v_fma_f16 v54, v54, 2.0, -v76
	v_fma_f16 v55, v55, 2.0, -v77
	;; [unrolled: 1-line block ×3, first 2 shown]
	ds_write_b16 v72, v73 offset:68
	ds_write_b16 v72, v51
	ds_write_b16 v70, v52
	ds_write_b16 v70, v74 offset:68
	ds_write_b16 v71, v53
	ds_write_b16 v71, v75 offset:68
	;; [unrolled: 2-line block ×5, first 2 shown]
	s_and_saveexec_b32 s1, s0
	s_cbranch_execz .LBB0_32
; %bb.31:
	v_mul_f16_sdwa v51, v59, v57 dst_sel:DWORD dst_unused:UNUSED_PAD src0_sel:DWORD src1_sel:WORD_1
	v_lshlrev_b32_sdwa v18, v18, v4 dst_sel:DWORD dst_unused:UNUSED_PAD src0_sel:DWORD src1_sel:WORD_0
	v_fma_f16 v51, v60, v57, -v51
	v_add3_u32 v18, 0, v18, v15
	v_sub_f16_e32 v51, v27, v51
	v_fma_f16 v27, v27, 2.0, -v51
	ds_write_b16 v18, v27 offset:1904
	ds_write_b16 v18, v51 offset:1972
.LBB0_32:
	s_or_b32 exec_lo, exec_lo, s1
	v_mul_f16_sdwa v18, v45, v65 dst_sel:DWORD dst_unused:UNUSED_PAD src0_sel:DWORD src1_sel:WORD_1
	v_mul_f16_sdwa v27, v41, v66 dst_sel:DWORD dst_unused:UNUSED_PAD src0_sel:DWORD src1_sel:WORD_1
	;; [unrolled: 1-line block ×5, first 2 shown]
	v_fmac_f16_e32 v18, v49, v65
	v_fmac_f16_e32 v27, v50, v66
	v_mul_f16_sdwa v33, v33, v64 dst_sel:DWORD dst_unused:UNUSED_PAD src0_sel:DWORD src1_sel:WORD_1
	v_mul_f16_sdwa v32, v32, v16 dst_sel:DWORD dst_unused:UNUSED_PAD src0_sel:DWORD src1_sel:WORD_1
	v_fmac_f16_e32 v38, v44, v17
	v_fmac_f16_e32 v35, v46, v62
	v_fmac_f16_e32 v34, v47, v63
	v_fmac_f16_e32 v33, v48, v64
	v_fmac_f16_e32 v32, v43, v16
	v_sub_f16_e32 v43, v42, v18
	v_sub_f16_e32 v44, v28, v27
	v_sub_f16_e32 v45, v30, v38
	v_sub_f16_e32 v46, v39, v35
	v_sub_f16_e32 v47, v40, v34
	v_fma_f16 v48, v42, 2.0, -v43
	v_fma_f16 v49, v28, 2.0, -v44
	;; [unrolled: 1-line block ×5, first 2 shown]
	v_sub_f16_e32 v53, v36, v33
	v_sub_f16_e32 v54, v37, v32
	s_waitcnt lgkmcnt(0)
	s_barrier
	buffer_gl0_inv
	ds_read_u16 v39, v26
	ds_read_u16 v17, v22
	;; [unrolled: 1-line block ×4, first 2 shown]
	ds_read_u16 v35, v20 offset:952
	ds_read_u16 v30, v20 offset:1088
	;; [unrolled: 1-line block ×5, first 2 shown]
	ds_read_u16 v41, v25
	ds_read_u16 v18, v24
	ds_read_u16 v42, v20 offset:1360
	ds_read_u16 v33, v20 offset:1224
	ds_read_u16 v28, v21
	ds_read_u16 v34, v20 offset:1904
	v_fma_f16 v36, v36, 2.0, -v53
	v_fma_f16 v37, v37, 2.0, -v54
	s_waitcnt lgkmcnt(0)
	s_barrier
	buffer_gl0_inv
	ds_write_b16 v61, v48
	ds_write_b16 v61, v43 offset:68
	ds_write_b16 v72, v49
	ds_write_b16 v72, v44 offset:68
	;; [unrolled: 2-line block ×7, first 2 shown]
	s_and_saveexec_b32 s1, s0
	s_cbranch_execz .LBB0_34
; %bb.33:
	v_mul_f16_sdwa v36, v60, v57 dst_sel:DWORD dst_unused:UNUSED_PAD src0_sel:DWORD src1_sel:WORD_1
	v_mov_b32_e32 v37, 1
	v_fmac_f16_e32 v36, v59, v57
	v_lshlrev_b32_sdwa v4, v37, v4 dst_sel:DWORD dst_unused:UNUSED_PAD src0_sel:DWORD src1_sel:WORD_0
	v_sub_f16_e32 v36, v31, v36
	v_add3_u32 v4, 0, v4, v15
	v_fma_f16 v31, v31, 2.0, -v36
	ds_write_b16 v4, v31 offset:1904
	ds_write_b16 v4, v36 offset:1972
.LBB0_34:
	s_or_b32 exec_lo, exec_lo, s1
	v_mov_b32_e32 v4, 0
	v_mov_b32_e32 v31, 0xf0f1
	s_waitcnt lgkmcnt(0)
	s_barrier
	buffer_gl0_inv
	v_lshlrev_b64 v[36:37], 2, v[3:4]
	v_mul_lo_u16 v3, 0x79, v29
	v_mov_b32_e32 v29, 3
	v_mov_b32_e32 v54, 1
	v_lshrrev_b16 v3, 13, v3
	v_add_co_u32 v36, s0, s8, v36
	v_add_co_ci_u32_e64 v37, s0, s9, v37, s0
	v_mul_lo_u16 v3, 0x44, v3
	global_load_dwordx2 v[36:37], v[36:37], off offset:264
	v_sub_nc_u16 v3, v14, v3
	v_mul_u32_u24_sdwa v14, v10, v31 dst_sel:DWORD dst_unused:UNUSED_PAD src0_sel:WORD_0 src1_sel:DWORD
	v_mul_u32_u24_sdwa v31, v7, v31 dst_sel:DWORD dst_unused:UNUSED_PAD src0_sel:WORD_0 src1_sel:DWORD
	v_lshlrev_b32_sdwa v43, v29, v3 dst_sel:DWORD dst_unused:UNUSED_PAD src0_sel:DWORD src1_sel:BYTE_0
	v_lshrrev_b32_e32 v14, 22, v14
	v_lshrrev_b32_e32 v31, 22, v31
	v_lshlrev_b32_sdwa v3, v54, v3 dst_sel:DWORD dst_unused:UNUSED_PAD src0_sel:DWORD src1_sel:BYTE_0
	global_load_dwordx2 v[43:44], v43, s[8:9] offset:264
	v_mul_lo_u16 v14, 0x44, v14
	v_mul_lo_u16 v31, 0x44, v31
	v_add3_u32 v3, 0, v3, v15
	v_sub_nc_u16 v10, v10, v14
	v_sub_nc_u16 v7, v7, v31
	v_lshlrev_b32_sdwa v14, v29, v10 dst_sel:DWORD dst_unused:UNUSED_PAD src0_sel:DWORD src1_sel:WORD_0
	v_lshlrev_b32_sdwa v29, v29, v7 dst_sel:DWORD dst_unused:UNUSED_PAD src0_sel:DWORD src1_sel:WORD_0
	;; [unrolled: 1-line block ×3, first 2 shown]
	s_clause 0x1
	global_load_dwordx2 v[45:46], v14, s[8:9] offset:264
	global_load_dwordx2 v[47:48], v29, s[8:9] offset:264
	ds_read_u16 v14, v25
	ds_read_u16 v29, v26
	;; [unrolled: 1-line block ×5, first 2 shown]
	ds_read_u16 v31, v20 offset:952
	ds_read_u16 v52, v20 offset:1088
	;; [unrolled: 1-line block ×6, first 2 shown]
	ds_read_u16 v58, v24
	ds_read_u16 v59, v20 offset:1224
	ds_read_u16 v60, v21
	ds_read_u16 v61, v20 offset:1904
	v_lshlrev_b32_sdwa v7, v54, v7 dst_sel:DWORD dst_unused:UNUSED_PAD src0_sel:DWORD src1_sel:WORD_0
	v_add3_u32 v54, 0, v10, v15
	s_waitcnt vmcnt(0) lgkmcnt(0)
	s_barrier
	buffer_gl0_inv
	v_add3_u32 v7, 0, v7, v15
	v_mul_f16_sdwa v10, v14, v36 dst_sel:DWORD dst_unused:UNUSED_PAD src0_sel:DWORD src1_sel:WORD_1
	v_mul_f16_sdwa v15, v41, v36 dst_sel:DWORD dst_unused:UNUSED_PAD src0_sel:DWORD src1_sel:WORD_1
	;; [unrolled: 1-line block ×8, first 2 shown]
	v_fma_f16 v10, v41, v36, -v10
	v_fmac_f16_e32 v15, v14, v36
	v_fma_f16 v14, v42, v37, -v62
	v_fmac_f16_e32 v63, v53, v37
	;; [unrolled: 2-line block ×4, first 2 shown]
	v_mul_f16_sdwa v36, v31, v43 dst_sel:DWORD dst_unused:UNUSED_PAD src0_sel:DWORD src1_sel:WORD_1
	v_mul_f16_sdwa v37, v35, v43 dst_sel:DWORD dst_unused:UNUSED_PAD src0_sel:DWORD src1_sel:WORD_1
	;; [unrolled: 1-line block ×4, first 2 shown]
	v_add_f16_e32 v42, v27, v10
	v_sub_f16_e32 v55, v15, v63
	v_add_f16_e32 v62, v51, v15
	v_add_f16_e32 v15, v15, v63
	;; [unrolled: 1-line block ×3, first 2 shown]
	v_fma_f16 v35, v35, v43, -v36
	v_fmac_f16_e32 v37, v31, v43
	v_fma_f16 v31, v38, v44, -v40
	v_fmac_f16_e32 v41, v56, v44
	v_mul_f16_sdwa v36, v52, v45 dst_sel:DWORD dst_unused:UNUSED_PAD src0_sel:DWORD src1_sel:WORD_1
	v_mul_f16_sdwa v40, v57, v46 dst_sel:DWORD dst_unused:UNUSED_PAD src0_sel:DWORD src1_sel:WORD_1
	;; [unrolled: 1-line block ×4, first 2 shown]
	v_add_f16_e32 v53, v10, v14
	v_mul_f16_sdwa v38, v30, v45 dst_sel:DWORD dst_unused:UNUSED_PAD src0_sel:DWORD src1_sel:WORD_1
	v_mul_f16_sdwa v43, v32, v46 dst_sel:DWORD dst_unused:UNUSED_PAD src0_sel:DWORD src1_sel:WORD_1
	;; [unrolled: 1-line block ×4, first 2 shown]
	v_add_f16_e32 v66, v39, v29
	v_sub_f16_e32 v68, v65, v67
	v_add_f16_e32 v69, v60, v65
	v_add_f16_e32 v65, v65, v67
	v_sub_f16_e32 v10, v10, v14
	v_sub_f16_e32 v39, v39, v29
	v_add_f16_e32 v14, v42, v14
	v_fmac_f16_e32 v51, -0.5, v15
	v_add_f16_e32 v15, v64, v29
	v_fma_f16 v29, v30, v45, -v36
	v_fma_f16 v30, v32, v46, -v40
	;; [unrolled: 1-line block ×4, first 2 shown]
	v_add_f16_e32 v34, v17, v35
	v_add_f16_e32 v36, v35, v31
	;; [unrolled: 1-line block ×3, first 2 shown]
	v_fmac_f16_e32 v27, -0.5, v53
	v_fmac_f16_e32 v38, v52, v45
	v_fmac_f16_e32 v43, v57, v46
	;; [unrolled: 1-line block ×4, first 2 shown]
	v_sub_f16_e32 v40, v37, v41
	v_add_f16_e32 v37, v37, v41
	v_fmac_f16_e32 v28, -0.5, v66
	v_fmac_f16_e32 v60, -0.5, v65
	v_sub_f16_e32 v35, v35, v31
	ds_write_b16 v20, v14
	ds_write_b16 v20, v15 offset:408
	v_add_f16_e32 v14, v34, v31
	v_fmac_f16_e32 v17, -0.5, v36
	v_add_f16_e32 v36, v44, v41
	v_add_f16_e32 v31, v29, v30
	;; [unrolled: 1-line block ×3, first 2 shown]
	v_fmamk_f16 v45, v55, 0x3aee, v27
	v_fmac_f16_e32 v49, -0.5, v37
	v_sub_f16_e32 v34, v38, v43
	v_add_f16_e32 v37, v50, v38
	v_add_f16_e32 v38, v38, v43
	;; [unrolled: 1-line block ×3, first 2 shown]
	v_fmac_f16_e32 v27, 0xbaee, v55
	v_fmamk_f16 v46, v10, 0xbaee, v51
	v_fmac_f16_e32 v51, 0x3aee, v10
	v_fmamk_f16 v10, v68, 0x3aee, v28
	v_add_f16_e32 v15, v16, v29
	v_fmac_f16_e32 v28, 0xbaee, v68
	v_fmamk_f16 v47, v39, 0xbaee, v60
	v_fmac_f16_e32 v60, 0x3aee, v39
	v_add_f16_e32 v39, v18, v32
	v_sub_f16_e32 v44, v56, v71
	v_fmac_f16_e32 v16, -0.5, v31
	v_fmac_f16_e32 v18, -0.5, v41
	v_sub_f16_e32 v29, v29, v30
	v_add_f16_e32 v48, v58, v56
	v_sub_f16_e32 v32, v32, v33
	ds_write_b16 v20, v45 offset:136
	ds_write_b16 v20, v27 offset:272
	;; [unrolled: 1-line block ×4, first 2 shown]
	v_fmamk_f16 v10, v40, 0x3aee, v17
	v_fmac_f16_e32 v50, -0.5, v38
	v_fmac_f16_e32 v58, -0.5, v52
	v_fmac_f16_e32 v17, 0xbaee, v40
	v_add_f16_e32 v15, v15, v30
	v_add_f16_e32 v27, v39, v33
	ds_write_b16 v3, v14 offset:816
	v_fmamk_f16 v14, v34, 0x3aee, v16
	v_fmac_f16_e32 v16, 0xbaee, v34
	v_fmamk_f16 v28, v44, 0x3aee, v18
	v_fmac_f16_e32 v18, 0xbaee, v44
	;; [unrolled: 2-line block ×5, first 2 shown]
	ds_write_b16 v3, v10 offset:952
	ds_write_b16 v3, v17 offset:1088
	;; [unrolled: 1-line block ×8, first 2 shown]
	s_waitcnt lgkmcnt(0)
	s_barrier
	buffer_gl0_inv
	ds_read_u16 v18, v24
	ds_read_u16 v10, v19
	ds_read_u16 v29, v20 offset:952
	ds_read_u16 v30, v20 offset:1360
	;; [unrolled: 1-line block ×3, first 2 shown]
	ds_read_u16 v16, v26
	ds_read_u16 v32, v25
	;; [unrolled: 1-line block ×4, first 2 shown]
	ds_read_u16 v27, v20 offset:1632
	ds_read_u16 v33, v20 offset:1496
	;; [unrolled: 1-line block ×4, first 2 shown]
	ds_read_u16 v14, v21
	ds_read_u16 v34, v20 offset:1904
	v_add_f16_e32 v42, v62, v63
	v_add_f16_e32 v53, v69, v67
	;; [unrolled: 1-line block ×4, first 2 shown]
	s_waitcnt lgkmcnt(0)
	s_barrier
	buffer_gl0_inv
	ds_write_b16 v20, v42
	ds_write_b16 v20, v46 offset:136
	ds_write_b16 v20, v51 offset:272
	;; [unrolled: 1-line block ×14, first 2 shown]
	s_waitcnt lgkmcnt(0)
	s_barrier
	buffer_gl0_inv
	s_and_saveexec_b32 s0, vcc_lo
	s_cbranch_execz .LBB0_36
; %bb.35:
	v_mov_b32_e32 v7, v4
	v_mov_b32_e32 v3, v4
	v_add_nc_u32_e32 v47, 0x264, v12
	v_add_nc_u32_e32 v48, 0x330, v12
	v_mul_hi_u32 v44, 0xa0a0a0a1, v11
	v_lshlrev_b64 v[36:37], 2, v[6:7]
	v_mov_b32_e32 v6, v4
	v_lshlrev_b64 v[2:3], 2, v[2:3]
	v_mul_hi_u32 v72, 0xa0a0a0a1, v8
	v_lshlrev_b64 v[38:39], 2, v[5:6]
	v_add_co_u32 v36, vcc_lo, s8, v36
	v_add_co_ci_u32_e32 v37, vcc_lo, s9, v37, vcc_lo
	v_lshrrev_b32_e32 v49, 7, v44
	global_load_dwordx4 v[4:7], v[36:37], off offset:808
	v_add_co_u32 v36, vcc_lo, s8, v38
	v_add_co_ci_u32_e32 v37, vcc_lo, s9, v39, vcc_lo
	v_add_co_u32 v2, vcc_lo, s8, v2
	v_add_co_ci_u32_e32 v3, vcc_lo, s9, v3, vcc_lo
	global_load_dwordx4 v[36:39], v[36:37], off offset:808
	v_add_co_u32 v0, vcc_lo, s12, v0
	global_load_dwordx4 v[40:43], v[2:3], off offset:808
	ds_read_u16 v57, v20 offset:1904
	ds_read_u16 v58, v26
	ds_read_u16 v59, v25
	;; [unrolled: 1-line block ×6, first 2 shown]
	ds_read_u16 v64, v20 offset:1768
	ds_read_u16 v65, v20 offset:1632
	;; [unrolled: 1-line block ×7, first 2 shown]
	ds_read_u16 v71, v19
	v_mad_u64_u32 v[2:3], null, s2, v12, 0
	v_mad_u64_u32 v[23:24], null, s2, v47, 0
	v_mad_u64_u32 v[19:20], null, s2, v13, 0
	v_mad_u64_u32 v[21:22], null, s2, v9, 0
	v_mad_u64_u32 v[25:26], null, s2, v48, 0
	v_add_co_ci_u32_e32 v1, vcc_lo, s13, v1, vcc_lo
	s_waitcnt vmcnt(2)
	v_mad_u64_u32 v[44:45], null, s3, v12, v[3:4]
	v_mov_b32_e32 v3, v24
	v_mad_u64_u32 v[12:13], null, s3, v13, v[20:21]
	v_mad_u64_u32 v[45:46], null, s3, v9, v[22:23]
	v_mov_b32_e32 v9, v26
	v_mad_u32_u24 v13, 0x330, v49, v11
	v_mad_u64_u32 v[46:47], null, s3, v47, v[3:4]
	v_mov_b32_e32 v20, v12
	v_mad_u64_u32 v[47:48], null, s3, v48, v[9:10]
	v_mad_u64_u32 v[48:49], null, s2, v13, 0
	v_add_nc_u32_e32 v54, 0xcc, v13
	v_add_nc_u32_e32 v55, 0x198, v13
	;; [unrolled: 1-line block ×4, first 2 shown]
	v_mov_b32_e32 v3, v44
	v_mad_u64_u32 v[11:12], null, s2, v54, 0
	v_mov_b32_e32 v22, v45
	v_mad_u64_u32 v[44:45], null, s2, v55, 0
	v_mad_u64_u32 v[50:51], null, s2, v56, 0
	v_mov_b32_e32 v9, v49
	v_mad_u64_u32 v[52:53], null, s2, v73, 0
	v_mov_b32_e32 v24, v46
	v_mov_b32_e32 v26, v47
	v_mad_u64_u32 v[46:47], null, s3, v13, v[9:10]
	v_mov_b32_e32 v9, v12
	v_mov_b32_e32 v12, v45
	;; [unrolled: 1-line block ×4, first 2 shown]
	s_waitcnt lgkmcnt(14)
	v_mul_f16_sdwa v74, v57, v7 dst_sel:DWORD dst_unused:UNUSED_PAD src0_sel:DWORD src1_sel:WORD_1
	v_mad_u64_u32 v[53:54], null, s3, v54, v[9:10]
	v_mad_u64_u32 v[54:55], null, s3, v55, v[12:13]
	;; [unrolled: 1-line block ×3, first 2 shown]
	v_mov_b32_e32 v49, v46
	v_mul_f16_sdwa v9, v32, v4 dst_sel:DWORD dst_unused:UNUSED_PAD src0_sel:DWORD src1_sel:WORD_1
	v_mov_b32_e32 v12, v53
	v_mul_f16_sdwa v13, v35, v5 dst_sel:DWORD dst_unused:UNUSED_PAD src0_sel:DWORD src1_sel:WORD_1
	v_mov_b32_e32 v45, v54
	v_mul_f16_sdwa v46, v34, v7 dst_sel:DWORD dst_unused:UNUSED_PAD src0_sel:DWORD src1_sel:WORD_1
	v_mov_b32_e32 v51, v55
	v_mul_f16_sdwa v53, v33, v6 dst_sel:DWORD dst_unused:UNUSED_PAD src0_sel:DWORD src1_sel:WORD_1
	s_waitcnt lgkmcnt(2)
	v_mul_f16_sdwa v54, v69, v5 dst_sel:DWORD dst_unused:UNUSED_PAD src0_sel:DWORD src1_sel:WORD_1
	v_mul_f16_sdwa v55, v66, v6 dst_sel:DWORD dst_unused:UNUSED_PAD src0_sel:DWORD src1_sel:WORD_1
	;; [unrolled: 1-line block ×3, first 2 shown]
	s_waitcnt vmcnt(1)
	v_mul_f16_sdwa v75, v18, v36 dst_sel:DWORD dst_unused:UNUSED_PAD src0_sel:DWORD src1_sel:WORD_1
	v_mul_f16_sdwa v76, v29, v37 dst_sel:DWORD dst_unused:UNUSED_PAD src0_sel:DWORD src1_sel:WORD_1
	;; [unrolled: 1-line block ×4, first 2 shown]
	s_waitcnt lgkmcnt(1)
	v_mul_f16_sdwa v79, v70, v37 dst_sel:DWORD dst_unused:UNUSED_PAD src0_sel:DWORD src1_sel:WORD_1
	v_mul_f16_sdwa v80, v67, v38 dst_sel:DWORD dst_unused:UNUSED_PAD src0_sel:DWORD src1_sel:WORD_1
	;; [unrolled: 1-line block ×4, first 2 shown]
	s_waitcnt vmcnt(0)
	v_mul_f16_sdwa v83, v17, v40 dst_sel:DWORD dst_unused:UNUSED_PAD src0_sel:DWORD src1_sel:WORD_1
	v_mul_f16_sdwa v84, v16, v41 dst_sel:DWORD dst_unused:UNUSED_PAD src0_sel:DWORD src1_sel:WORD_1
	;; [unrolled: 1-line block ×8, first 2 shown]
	v_fmac_f16_e32 v9, v59, v4
	v_fmac_f16_e32 v13, v69, v5
	v_fmac_f16_e32 v46, v57, v7
	v_fmac_f16_e32 v53, v66, v6
	v_fma_f16 v5, v35, v5, -v54
	v_fma_f16 v6, v33, v6, -v55
	v_fma_f16 v4, v32, v4, -v56
	v_fma_f16 v7, v34, v7, -v74
	v_fmac_f16_e32 v75, v60, v36
	v_fmac_f16_e32 v76, v70, v37
	v_fmac_f16_e32 v77, v64, v39
	v_fmac_f16_e32 v78, v67, v38
	v_fma_f16 v29, v29, v37, -v79
	v_fma_f16 v30, v30, v38, -v80
	v_fma_f16 v18, v18, v36, -v81
	v_fma_f16 v28, v28, v39, -v82
	;; [unrolled: 8-line block ×3, first 2 shown]
	v_sub_f16_e32 v32, v9, v13
	v_sub_f16_e32 v33, v46, v53
	;; [unrolled: 1-line block ×3, first 2 shown]
	v_add_f16_e32 v36, v13, v53
	v_sub_f16_e32 v37, v4, v5
	v_sub_f16_e32 v38, v7, v6
	v_add_f16_e32 v39, v5, v6
	v_sub_f16_e32 v40, v9, v46
	v_sub_f16_e32 v42, v13, v9
	;; [unrolled: 1-line block ×3, first 2 shown]
	v_add_f16_e32 v54, v9, v46
	v_sub_f16_e32 v55, v5, v4
	v_sub_f16_e32 v56, v6, v7
	v_add_f16_e32 v57, v4, v7
	v_add_f16_e32 v9, v9, v62
	;; [unrolled: 1-line block ×3, first 2 shown]
	v_sub_f16_e32 v58, v75, v76
	v_sub_f16_e32 v59, v77, v78
	;; [unrolled: 1-line block ×3, first 2 shown]
	v_add_f16_e32 v64, v76, v78
	v_sub_f16_e32 v65, v18, v29
	v_add_f16_e32 v67, v29, v30
	v_sub_f16_e32 v68, v75, v77
	v_sub_f16_e32 v70, v76, v75
	v_add_f16_e32 v79, v75, v77
	v_sub_f16_e32 v80, v29, v18
	v_add_f16_e32 v82, v18, v28
	v_add_f16_e32 v75, v75, v63
	;; [unrolled: 1-line block ×3, first 2 shown]
	v_sub_f16_e32 v87, v83, v84
	v_sub_f16_e32 v90, v17, v27
	v_add_f16_e32 v91, v84, v86
	v_sub_f16_e32 v92, v17, v16
	v_add_f16_e32 v94, v16, v31
	v_sub_f16_e32 v95, v83, v85
	v_sub_f16_e32 v97, v84, v83
	v_add_f16_e32 v99, v83, v85
	v_sub_f16_e32 v100, v16, v17
	v_add_f16_e32 v102, v17, v27
	s_waitcnt lgkmcnt(0)
	v_add_f16_e32 v83, v83, v71
	v_add_f16_e32 v17, v10, v17
	v_sub_f16_e32 v66, v28, v30
	v_lshlrev_b64 v[2:3], 2, v[2:3]
	v_sub_f16_e32 v34, v5, v6
	v_sub_f16_e32 v41, v13, v53
	v_sub_f16_e32 v89, v16, v31
	v_add_f16_e32 v32, v32, v33
	v_fma_f16 v33, -0.5, v36, v62
	v_add_f16_e32 v36, v37, v38
	v_fma_f16 v37, -0.5, v39, v15
	;; [unrolled: 2-line block ×3, first 2 shown]
	v_add_f16_e32 v42, v55, v56
	v_add_f16_e32 v9, v13, v9
	;; [unrolled: 1-line block ×4, first 2 shown]
	v_fma_f16 v13, -0.5, v64, v63
	v_fma_f16 v54, -0.5, v67, v14
	;; [unrolled: 1-line block ×3, first 2 shown]
	v_add_f16_e32 v58, v76, v75
	v_add_f16_e32 v18, v18, v29
	v_fma_f16 v59, -0.5, v91, v71
	v_fma_f16 v63, -0.5, v94, v10
	v_add_f16_e32 v67, v84, v83
	v_add_f16_e32 v16, v17, v16
	v_sub_f16_e32 v81, v30, v28
	v_sub_f16_e32 v96, v84, v86
	v_fma_f16 v43, -0.5, v57, v15
	v_add_f16_e32 v15, v65, v66
	v_fma_f16 v65, -0.5, v99, v71
	v_fma_f16 v10, -0.5, v102, v10
	v_lshlrev_b64 v[19:20], 2, v[19:20]
	v_sub_f16_e32 v60, v29, v30
	v_sub_f16_e32 v69, v76, v78
	;; [unrolled: 1-line block ×5, first 2 shown]
	v_add_f16_e32 v9, v53, v9
	v_fmamk_f16 v75, v61, 0x3b9c, v13
	v_fmac_f16_e32 v13, 0xbb9c, v61
	v_add_f16_e32 v58, v78, v58
	v_add_f16_e32 v18, v18, v30
	v_fmamk_f16 v30, v90, 0x3b9c, v59
	v_fmamk_f16 v78, v95, 0xbb9c, v63
	v_fmac_f16_e32 v59, 0xbb9c, v90
	v_fmac_f16_e32 v63, 0x3b9c, v95
	v_add_f16_e32 v67, v86, v67
	v_add_f16_e32 v16, v16, v31
	v_lshlrev_b64 v[21:22], 2, v[21:22]
	v_add_co_u32 v2, vcc_lo, v0, v2
	v_sub_f16_e32 v98, v86, v85
	v_sub_f16_e32 v101, v31, v27
	v_add_f16_e32 v57, v80, v81
	v_fmamk_f16 v79, v89, 0xbb9c, v65
	v_fmamk_f16 v80, v96, 0x3b9c, v10
	v_fmac_f16_e32 v65, 0x3b9c, v89
	v_fmac_f16_e32 v10, 0xbb9c, v96
	v_add_co_ci_u32_e32 v3, vcc_lo, v1, v3, vcc_lo
	v_lshlrev_b64 v[23:24], 2, v[23:24]
	v_add_co_u32 v19, vcc_lo, v0, v19
	v_fma_f16 v14, -0.5, v82, v14
	v_add_f16_e32 v29, v87, v88
	v_add_f16_e32 v62, v92, v93
	v_add_f16_e32 v31, v46, v9
	v_fmac_f16_e32 v75, 0x38b4, v60
	v_fmac_f16_e32 v13, 0xb8b4, v60
	;; [unrolled: 1-line block ×4, first 2 shown]
	v_add_f16_e32 v9, v85, v67
	v_add_f16_e32 v16, v27, v16
	v_add_co_ci_u32_e32 v20, vcc_lo, v1, v20, vcc_lo
	v_add_f16_e32 v64, v97, v98
	v_add_f16_e32 v66, v100, v101
	v_fmac_f16_e32 v65, 0xb8b4, v90
	v_fmac_f16_e32 v10, 0x38b4, v95
	v_lshlrev_b64 v[25:26], 2, v[25:26]
	v_add_co_u32 v21, vcc_lo, v0, v21
	v_fmac_f16_e32 v79, 0x38b4, v90
	v_fmac_f16_e32 v80, 0xb8b4, v95
	v_fmamk_f16 v17, v35, 0x3b9c, v33
	v_fmac_f16_e32 v33, 0xbb9c, v35
	v_add_f16_e32 v4, v4, v6
	v_fmac_f16_e32 v30, 0x38b4, v89
	v_fmac_f16_e32 v78, 0xb8b4, v96
	v_add_co_ci_u32_e32 v22, vcc_lo, v1, v22, vcc_lo
	v_add_co_u32 v23, vcc_lo, v0, v23
	v_lshlrev_b64 v[48:49], 2, v[48:49]
	v_fmamk_f16 v76, v68, 0xbb9c, v54
	v_fmamk_f16 v6, v60, 0xbb9c, v56
	;; [unrolled: 1-line block ×3, first 2 shown]
	v_fmac_f16_e32 v56, 0x3b9c, v60
	v_fmac_f16_e32 v14, 0xbb9c, v69
	;; [unrolled: 1-line block ×6, first 2 shown]
	v_pack_b32_f16 v5, v16, v9
	v_fmac_f16_e32 v63, 0x34f2, v62
	v_fmac_f16_e32 v65, 0x34f2, v64
	;; [unrolled: 1-line block ×3, first 2 shown]
	v_add_co_ci_u32_e32 v24, vcc_lo, v1, v24, vcc_lo
	v_fmac_f16_e32 v79, 0x34f2, v64
	v_fmac_f16_e32 v80, 0x34f2, v66
	v_add_co_u32 v25, vcc_lo, v0, v25
	v_lshlrev_b64 v[11:12], 2, v[11:12]
	v_fmamk_f16 v71, v34, 0xbb9c, v39
	v_fmac_f16_e32 v39, 0x3b9c, v34
	v_fmac_f16_e32 v17, 0x38b4, v34
	;; [unrolled: 1-line block ×3, first 2 shown]
	v_add_f16_e32 v34, v7, v4
	v_add_f16_e32 v4, v77, v58
	;; [unrolled: 1-line block ×3, first 2 shown]
	v_fmac_f16_e32 v30, 0x34f2, v29
	v_fmac_f16_e32 v78, 0x34f2, v62
	v_add_co_ci_u32_e32 v26, vcc_lo, v1, v26, vcc_lo
	v_add_f16_e32 v55, v70, v74
	v_fmac_f16_e32 v56, 0xb8b4, v61
	v_fmac_f16_e32 v14, 0x38b4, v68
	;; [unrolled: 1-line block ×3, first 2 shown]
	global_store_dword v[2:3], v5, off
	v_pack_b32_f16 v2, v63, v59
	v_lshlrev_b64 v[44:45], 2, v[44:45]
	v_add_co_u32 v48, vcc_lo, v0, v48
	v_pack_b32_f16 v3, v10, v65
	v_fmac_f16_e32 v6, 0x38b4, v61
	v_fmac_f16_e32 v53, 0xb8b4, v68
	v_pack_b32_f16 v5, v80, v79
	v_add_co_ci_u32_e32 v49, vcc_lo, v1, v49, vcc_lo
	v_pack_b32_f16 v4, v7, v4
	v_pack_b32_f16 v7, v78, v30
	v_lshlrev_b64 v[50:51], 2, v[50:51]
	v_add_co_u32 v11, vcc_lo, v0, v11
	v_fmac_f16_e32 v56, 0x34f2, v55
	v_fmac_f16_e32 v14, 0x34f2, v57
	;; [unrolled: 1-line block ×3, first 2 shown]
	global_store_dword v[19:20], v2, off
	global_store_dword v[21:22], v3, off
	;; [unrolled: 1-line block ×5, first 2 shown]
	v_lshrrev_b32_e32 v7, 7, v72
	v_add_co_ci_u32_e32 v12, vcc_lo, v1, v12, vcc_lo
	v_add_co_u32 v44, vcc_lo, v0, v44
	v_fmac_f16_e32 v6, 0x34f2, v55
	v_fmac_f16_e32 v53, 0x34f2, v57
	v_add_co_ci_u32_e32 v45, vcc_lo, v1, v45, vcc_lo
	v_mad_u64_u32 v[2:3], null, s3, v73, v[47:48]
	v_pack_b32_f16 v9, v54, v13
	v_pack_b32_f16 v5, v14, v56
	v_add_co_u32 v3, vcc_lo, v0, v50
	v_mad_u32_u24 v14, 0x330, v7, v8
	v_add_co_ci_u32_e32 v4, vcc_lo, v1, v51, vcc_lo
	v_pack_b32_f16 v6, v53, v6
	v_fmac_f16_e32 v76, 0xb8b4, v69
	global_store_dword v[11:12], v9, off
	global_store_dword v[44:45], v5, off
	;; [unrolled: 1-line block ×3, first 2 shown]
	v_add_nc_u32_e32 v12, 0xcc, v14
	v_mad_u64_u32 v[4:5], null, s2, v14, 0
	v_fmac_f16_e32 v76, 0x34f2, v15
	v_add_nc_u32_e32 v15, 0x198, v14
	v_mad_u64_u32 v[6:7], null, s2, v12, 0
	v_mov_b32_e32 v53, v2
	v_add_nc_u32_e32 v18, 0x264, v14
	v_mad_u64_u32 v[8:9], null, s2, v15, 0
	v_pack_b32_f16 v16, v76, v75
	v_lshlrev_b64 v[2:3], 2, v[52:53]
	v_mad_u64_u32 v[10:11], null, s3, v14, v[5:6]
	v_add_nc_u32_e32 v14, 0x330, v14
	v_fmamk_f16 v70, v40, 0xbb9c, v37
	v_mad_u64_u32 v[11:12], null, s3, v12, v[7:8]
	v_mov_b32_e32 v7, v9
	v_mad_u64_u32 v[12:13], null, s2, v18, 0
	v_add_co_u32 v2, vcc_lo, v0, v2
	v_add_co_ci_u32_e32 v3, vcc_lo, v1, v3, vcc_lo
	v_mov_b32_e32 v5, v10
	v_mad_u64_u32 v[9:10], null, s3, v15, v[7:8]
	v_mov_b32_e32 v7, v11
	v_mad_u64_u32 v[10:11], null, s2, v14, 0
	global_store_dword v[2:3], v16, off
	v_lshlrev_b64 v[2:3], 2, v[4:5]
	v_mov_b32_e32 v4, v13
	v_lshlrev_b64 v[6:7], 2, v[6:7]
	v_fmac_f16_e32 v37, 0x3b9c, v40
	v_fmamk_f16 v74, v41, 0x3b9c, v43
	v_fmac_f16_e32 v43, 0xbb9c, v41
	v_mad_u64_u32 v[4:5], null, s3, v18, v[4:5]
	v_mov_b32_e32 v5, v11
	v_add_co_u32 v2, vcc_lo, v0, v2
	v_add_co_ci_u32_e32 v3, vcc_lo, v1, v3, vcc_lo
	v_mad_u64_u32 v[14:15], null, s3, v14, v[5:6]
	v_mov_b32_e32 v13, v4
	v_lshlrev_b64 v[8:9], 2, v[8:9]
	v_fmac_f16_e32 v37, 0x38b4, v41
	v_add_co_u32 v4, vcc_lo, v0, v6
	v_fmac_f16_e32 v39, 0xb8b4, v35
	v_mov_b32_e32 v11, v14
	v_fmac_f16_e32 v43, 0x38b4, v40
	v_fmac_f16_e32 v71, 0x38b4, v35
	;; [unrolled: 1-line block ×3, first 2 shown]
	v_add_co_ci_u32_e32 v5, vcc_lo, v1, v7, vcc_lo
	v_lshlrev_b64 v[6:7], 2, v[12:13]
	v_fmac_f16_e32 v70, 0xb8b4, v41
	v_fmac_f16_e32 v33, 0x34f2, v32
	v_fmac_f16_e32 v37, 0x34f2, v36
	v_add_co_u32 v8, vcc_lo, v0, v8
	v_lshlrev_b64 v[10:11], 2, v[10:11]
	v_fmac_f16_e32 v39, 0x34f2, v38
	v_fmac_f16_e32 v43, 0x34f2, v42
	;; [unrolled: 1-line block ×4, first 2 shown]
	v_add_co_ci_u32_e32 v9, vcc_lo, v1, v9, vcc_lo
	v_fmac_f16_e32 v17, 0x34f2, v32
	v_fmac_f16_e32 v70, 0x34f2, v36
	v_add_co_u32 v6, vcc_lo, v0, v6
	v_pack_b32_f16 v16, v34, v31
	v_pack_b32_f16 v15, v37, v33
	v_add_co_ci_u32_e32 v7, vcc_lo, v1, v7, vcc_lo
	v_pack_b32_f16 v12, v43, v39
	v_add_co_u32 v0, vcc_lo, v0, v10
	v_pack_b32_f16 v13, v74, v71
	v_add_co_ci_u32_e32 v1, vcc_lo, v1, v11, vcc_lo
	v_pack_b32_f16 v10, v70, v17
	global_store_dword v[2:3], v16, off
	global_store_dword v[4:5], v15, off
	;; [unrolled: 1-line block ×5, first 2 shown]
.LBB0_36:
	s_endpgm
	.section	.rodata,"a",@progbits
	.p2align	6, 0x0
	.amdhsa_kernel fft_rtc_fwd_len1020_factors_2_17_2_3_5_wgs_204_tpt_68_halfLds_half_ip_CI_sbrr_dirReg
		.amdhsa_group_segment_fixed_size 0
		.amdhsa_private_segment_fixed_size 0
		.amdhsa_kernarg_size 88
		.amdhsa_user_sgpr_count 6
		.amdhsa_user_sgpr_private_segment_buffer 1
		.amdhsa_user_sgpr_dispatch_ptr 0
		.amdhsa_user_sgpr_queue_ptr 0
		.amdhsa_user_sgpr_kernarg_segment_ptr 1
		.amdhsa_user_sgpr_dispatch_id 0
		.amdhsa_user_sgpr_flat_scratch_init 0
		.amdhsa_user_sgpr_private_segment_size 0
		.amdhsa_wavefront_size32 1
		.amdhsa_uses_dynamic_stack 0
		.amdhsa_system_sgpr_private_segment_wavefront_offset 0
		.amdhsa_system_sgpr_workgroup_id_x 1
		.amdhsa_system_sgpr_workgroup_id_y 0
		.amdhsa_system_sgpr_workgroup_id_z 0
		.amdhsa_system_sgpr_workgroup_info 0
		.amdhsa_system_vgpr_workitem_id 0
		.amdhsa_next_free_vgpr 111
		.amdhsa_next_free_sgpr 23
		.amdhsa_reserve_vcc 1
		.amdhsa_reserve_flat_scratch 0
		.amdhsa_float_round_mode_32 0
		.amdhsa_float_round_mode_16_64 0
		.amdhsa_float_denorm_mode_32 3
		.amdhsa_float_denorm_mode_16_64 3
		.amdhsa_dx10_clamp 1
		.amdhsa_ieee_mode 1
		.amdhsa_fp16_overflow 0
		.amdhsa_workgroup_processor_mode 1
		.amdhsa_memory_ordered 1
		.amdhsa_forward_progress 0
		.amdhsa_shared_vgpr_count 0
		.amdhsa_exception_fp_ieee_invalid_op 0
		.amdhsa_exception_fp_denorm_src 0
		.amdhsa_exception_fp_ieee_div_zero 0
		.amdhsa_exception_fp_ieee_overflow 0
		.amdhsa_exception_fp_ieee_underflow 0
		.amdhsa_exception_fp_ieee_inexact 0
		.amdhsa_exception_int_div_zero 0
	.end_amdhsa_kernel
	.text
.Lfunc_end0:
	.size	fft_rtc_fwd_len1020_factors_2_17_2_3_5_wgs_204_tpt_68_halfLds_half_ip_CI_sbrr_dirReg, .Lfunc_end0-fft_rtc_fwd_len1020_factors_2_17_2_3_5_wgs_204_tpt_68_halfLds_half_ip_CI_sbrr_dirReg
                                        ; -- End function
	.section	.AMDGPU.csdata,"",@progbits
; Kernel info:
; codeLenInByte = 15072
; NumSgprs: 25
; NumVgprs: 111
; ScratchSize: 0
; MemoryBound: 0
; FloatMode: 240
; IeeeMode: 1
; LDSByteSize: 0 bytes/workgroup (compile time only)
; SGPRBlocks: 3
; VGPRBlocks: 13
; NumSGPRsForWavesPerEU: 25
; NumVGPRsForWavesPerEU: 111
; Occupancy: 9
; WaveLimiterHint : 1
; COMPUTE_PGM_RSRC2:SCRATCH_EN: 0
; COMPUTE_PGM_RSRC2:USER_SGPR: 6
; COMPUTE_PGM_RSRC2:TRAP_HANDLER: 0
; COMPUTE_PGM_RSRC2:TGID_X_EN: 1
; COMPUTE_PGM_RSRC2:TGID_Y_EN: 0
; COMPUTE_PGM_RSRC2:TGID_Z_EN: 0
; COMPUTE_PGM_RSRC2:TIDIG_COMP_CNT: 0
	.text
	.p2alignl 6, 3214868480
	.fill 48, 4, 3214868480
	.type	__hip_cuid_3355df774bc66756,@object ; @__hip_cuid_3355df774bc66756
	.section	.bss,"aw",@nobits
	.globl	__hip_cuid_3355df774bc66756
__hip_cuid_3355df774bc66756:
	.byte	0                               ; 0x0
	.size	__hip_cuid_3355df774bc66756, 1

	.ident	"AMD clang version 19.0.0git (https://github.com/RadeonOpenCompute/llvm-project roc-6.4.0 25133 c7fe45cf4b819c5991fe208aaa96edf142730f1d)"
	.section	".note.GNU-stack","",@progbits
	.addrsig
	.addrsig_sym __hip_cuid_3355df774bc66756
	.amdgpu_metadata
---
amdhsa.kernels:
  - .args:
      - .actual_access:  read_only
        .address_space:  global
        .offset:         0
        .size:           8
        .value_kind:     global_buffer
      - .offset:         8
        .size:           8
        .value_kind:     by_value
      - .actual_access:  read_only
        .address_space:  global
        .offset:         16
        .size:           8
        .value_kind:     global_buffer
      - .actual_access:  read_only
        .address_space:  global
        .offset:         24
        .size:           8
        .value_kind:     global_buffer
      - .offset:         32
        .size:           8
        .value_kind:     by_value
      - .actual_access:  read_only
        .address_space:  global
        .offset:         40
        .size:           8
        .value_kind:     global_buffer
      - .actual_access:  read_only
        .address_space:  global
        .offset:         48
        .size:           8
        .value_kind:     global_buffer
      - .offset:         56
        .size:           4
        .value_kind:     by_value
      - .actual_access:  read_only
        .address_space:  global
        .offset:         64
        .size:           8
        .value_kind:     global_buffer
      - .actual_access:  read_only
        .address_space:  global
        .offset:         72
        .size:           8
        .value_kind:     global_buffer
      - .address_space:  global
        .offset:         80
        .size:           8
        .value_kind:     global_buffer
    .group_segment_fixed_size: 0
    .kernarg_segment_align: 8
    .kernarg_segment_size: 88
    .language:       OpenCL C
    .language_version:
      - 2
      - 0
    .max_flat_workgroup_size: 204
    .name:           fft_rtc_fwd_len1020_factors_2_17_2_3_5_wgs_204_tpt_68_halfLds_half_ip_CI_sbrr_dirReg
    .private_segment_fixed_size: 0
    .sgpr_count:     25
    .sgpr_spill_count: 0
    .symbol:         fft_rtc_fwd_len1020_factors_2_17_2_3_5_wgs_204_tpt_68_halfLds_half_ip_CI_sbrr_dirReg.kd
    .uniform_work_group_size: 1
    .uses_dynamic_stack: false
    .vgpr_count:     111
    .vgpr_spill_count: 0
    .wavefront_size: 32
    .workgroup_processor_mode: 1
amdhsa.target:   amdgcn-amd-amdhsa--gfx1030
amdhsa.version:
  - 1
  - 2
...

	.end_amdgpu_metadata
